;; amdgpu-corpus repo=ROCm/rocFFT kind=compiled arch=gfx906 opt=O3
	.text
	.amdgcn_target "amdgcn-amd-amdhsa--gfx906"
	.amdhsa_code_object_version 6
	.protected	bluestein_single_fwd_len17_dim1_dp_op_CI_CI ; -- Begin function bluestein_single_fwd_len17_dim1_dp_op_CI_CI
	.globl	bluestein_single_fwd_len17_dim1_dp_op_CI_CI
	.p2align	8
	.type	bluestein_single_fwd_len17_dim1_dp_op_CI_CI,@function
bluestein_single_fwd_len17_dim1_dp_op_CI_CI: ; @bluestein_single_fwd_len17_dim1_dp_op_CI_CI
; %bb.0:
	s_load_dwordx4 s[0:3], s[4:5], 0x28
	s_mulk_i32 s6, 0x78
	v_add_u32_e32 v0, s6, v0
	v_mov_b32_e32 v1, 0
	s_waitcnt lgkmcnt(0)
	v_cmp_gt_u64_e32 vcc, s[0:1], v[0:1]
	s_movk_i32 s0, 0x78
	s_and_saveexec_b64 s[6:7], vcc
	s_cbranch_execz .LBB0_2
; %bb.1:
	s_load_dwordx2 s[16:17], s[4:5], 0x0
	s_load_dwordx4 s[8:11], s[4:5], 0x18
	s_load_dwordx2 s[6:7], s[4:5], 0x38
	s_mov_b32 s1, 0x88888889
	v_mul_hi_u32 v1, v0, s1
	s_waitcnt lgkmcnt(0)
	s_load_dwordx16 s[52:67], s[16:17], 0x0
	s_load_dwordx4 s[88:91], s[10:11], 0x0
	s_load_dwordx4 s[68:71], s[8:9], 0x0
	v_lshrrev_b32_e32 v1, 6, v1
	v_mul_lo_u32 v1, v1, s0
                                        ; implicit-def: $vgpr145 : SGPR spill to VGPR lane
                                        ; kill: killed $sgpr4_sgpr5
	s_mov_b64 s[20:21], s[16:17]
	s_waitcnt lgkmcnt(0)
	v_mad_u64_u32 v[64:65], s[0:1], s90, v0, 0
	v_sub_u32_e32 v8, v0, v1
	v_mul_u32_u24_e32 v78, 0x110, v8
	v_mov_b32_e32 v1, v65
	v_mad_u64_u32 v[1:2], s[0:1], s91, v0, v[1:2]
	v_writelane_b32 v145, s6, 0
	v_writelane_b32 v145, s7, 1
	v_mov_b32_e32 v65, v1
	v_mad_u64_u32 v[1:2], s[0:1], s70, v0, 0
	v_mov_b32_e32 v86, 0x50
	v_mov_b32_e32 v87, 0x60
	v_mad_u64_u32 v[2:3], s[0:1], s71, v0, v[2:3]
	s_lshl_b64 s[0:1], s[68:69], 4
	v_mov_b32_e32 v82, 0x70
	v_lshlrev_b64 v[0:1], 4, v[1:2]
	v_mov_b32_e32 v2, s3
	v_add_co_u32_e32 v0, vcc, s2, v0
	v_addc_co_u32_e32 v1, vcc, v2, v1, vcc
	global_load_dwordx4 v[2:5], v[0:1], off
	v_mov_b32_e32 v84, 0x90
	v_mov_b32_e32 v83, 0xa0
	v_mov_b32_e32 v79, 0xb0
	v_mov_b32_e32 v81, 0xc0
	s_load_dwordx16 s[36:51], s[20:21], 0xc0
	v_mov_b32_e32 v80, 0xd0
	v_mov_b32_e32 v88, 0xe0
	;; [unrolled: 1-line block ×3, first 2 shown]
	s_mov_b32 s26, 0x5d8e7cdc
	s_mov_b32 s84, 0xeb564b22
	;; [unrolled: 1-line block ×20, first 2 shown]
	s_waitcnt vmcnt(0)
	v_mul_f64 v[6:7], v[4:5], s[54:55]
	v_fma_f64 v[6:7], v[2:3], s[52:53], v[6:7]
	v_mul_f64 v[2:3], v[2:3], s[54:55]
	v_fma_f64 v[8:9], v[4:5], s[52:53], -v[2:3]
	v_add_co_u32_e32 v2, vcc, s0, v0
	v_mov_b32_e32 v3, s1
	v_addc_co_u32_e32 v3, vcc, v1, v3, vcc
	global_load_dwordx4 v[2:5], v[2:3], off
	s_lshl_b64 s[0:1], s[68:69], 5
	ds_write_b128 v78, v[6:9]
	s_waitcnt vmcnt(0)
	v_mul_f64 v[6:7], v[4:5], s[58:59]
	v_fma_f64 v[6:7], v[2:3], s[56:57], v[6:7]
	v_mul_f64 v[2:3], v[2:3], s[58:59]
	v_fma_f64 v[8:9], v[4:5], s[56:57], -v[2:3]
	v_add_co_u32_e32 v2, vcc, s0, v0
	v_mov_b32_e32 v3, s1
	v_addc_co_u32_e32 v3, vcc, v1, v3, vcc
	global_load_dwordx4 v[2:5], v[2:3], off
	ds_write_b128 v78, v[6:9] offset:16
	s_waitcnt vmcnt(0)
	v_mul_f64 v[6:7], v[4:5], s[62:63]
	v_fma_f64 v[6:7], v[2:3], s[60:61], v[6:7]
	v_mul_f64 v[2:3], v[2:3], s[62:63]
	v_fma_f64 v[8:9], v[4:5], s[60:61], -v[2:3]
	v_mad_u64_u32 v[2:3], s[0:1], s68, 48, v[0:1]
	v_mad_u64_u32 v[3:4], s[0:1], s69, 48, v[3:4]
	s_lshl_b64 s[0:1], s[68:69], 6
	ds_write_b128 v78, v[6:9] offset:32
	global_load_dwordx4 v[2:5], v[2:3], off
	s_waitcnt vmcnt(0)
	v_mul_f64 v[6:7], v[4:5], s[66:67]
	v_fma_f64 v[6:7], v[2:3], s[64:65], v[6:7]
	v_mul_f64 v[2:3], v[2:3], s[66:67]
	v_fma_f64 v[8:9], v[4:5], s[64:65], -v[2:3]
	v_add_co_u32_e32 v2, vcc, s0, v0
	v_mov_b32_e32 v3, s1
	v_addc_co_u32_e32 v3, vcc, v1, v3, vcc
	global_load_dwordx4 v[2:5], v[2:3], off
	s_load_dwordx16 s[0:15], s[16:17], 0x40
	ds_write_b128 v78, v[6:9] offset:48
	s_waitcnt lgkmcnt(0)
	s_mov_b64 s[18:19], s[14:15]
	s_mov_b64 s[16:17], s[12:13]
	;; [unrolled: 1-line block ×8, first 2 shown]
	s_waitcnt vmcnt(0)
	v_mul_f64 v[6:7], v[4:5], s[2:3]
	v_fma_f64 v[6:7], v[2:3], s[0:1], v[6:7]
	v_mul_f64 v[2:3], v[2:3], s[2:3]
	v_fma_f64 v[8:9], v[4:5], s[0:1], -v[2:3]
	v_mad_u64_u32 v[2:3], s[0:1], s68, v86, v[0:1]
	s_mul_i32 s0, s69, 0x50
	v_add_u32_e32 v3, s0, v3
	global_load_dwordx4 v[2:5], v[2:3], off
	ds_write_b128 v78, v[6:9] offset:64
	s_waitcnt vmcnt(0)
	v_mul_f64 v[6:7], v[4:5], s[10:11]
	v_fma_f64 v[6:7], v[2:3], s[8:9], v[6:7]
	v_mul_f64 v[2:3], v[2:3], s[10:11]
	v_fma_f64 v[8:9], v[4:5], s[8:9], -v[2:3]
	v_mad_u64_u32 v[2:3], s[0:1], s68, v87, v[0:1]
	s_mul_i32 s0, s69, 0x60
	v_add_u32_e32 v3, s0, v3
	global_load_dwordx4 v[2:5], v[2:3], off
	ds_write_b128 v78, v[6:9] offset:80
	s_waitcnt vmcnt(0)
	v_mul_f64 v[6:7], v[4:5], s[14:15]
	v_fma_f64 v[6:7], v[2:3], s[12:13], v[6:7]
	v_mul_f64 v[2:3], v[2:3], s[14:15]
	v_fma_f64 v[8:9], v[4:5], s[12:13], -v[2:3]
	v_mad_u64_u32 v[2:3], s[0:1], s68, v82, v[0:1]
	s_mul_i32 s0, s69, 0x70
	v_writelane_b32 v145, s4, 2
	v_add_u32_e32 v3, s0, v3
	global_load_dwordx4 v[2:5], v[2:3], off
	s_lshl_b64 s[0:1], s[68:69], 7
	ds_write_b128 v78, v[6:9] offset:96
	v_writelane_b32 v145, s5, 3
	v_writelane_b32 v145, s6, 4
	;; [unrolled: 1-line block ×15, first 2 shown]
	s_waitcnt vmcnt(0)
	v_mul_f64 v[6:7], v[4:5], s[18:19]
	v_fma_f64 v[6:7], v[2:3], s[16:17], v[6:7]
	v_mul_f64 v[2:3], v[2:3], s[18:19]
	v_fma_f64 v[8:9], v[4:5], s[16:17], -v[2:3]
	v_add_co_u32_e32 v2, vcc, s0, v0
	v_mov_b32_e32 v3, s1
	v_addc_co_u32_e32 v3, vcc, v1, v3, vcc
	global_load_dwordx4 v[2:5], v[2:3], off
	s_load_dwordx16 s[0:15], s[20:21], 0x80
	ds_write_b128 v78, v[6:9] offset:112
	s_waitcnt lgkmcnt(0)
	s_mov_b64 s[18:19], s[14:15]
	s_mov_b64 s[16:17], s[12:13]
	;; [unrolled: 1-line block ×8, first 2 shown]
	s_waitcnt vmcnt(0)
	v_mul_f64 v[6:7], v[4:5], s[2:3]
	v_fma_f64 v[6:7], v[2:3], s[0:1], v[6:7]
	v_mul_f64 v[2:3], v[2:3], s[2:3]
	s_mov_b32 s2, 0x370991
	s_mov_b32 s3, 0x3fedd6d0
	v_fma_f64 v[8:9], v[4:5], s[0:1], -v[2:3]
	v_mad_u64_u32 v[2:3], s[0:1], s68, v84, v[0:1]
	s_mul_i32 s0, s69, 0x90
	v_add_u32_e32 v3, s0, v3
	global_load_dwordx4 v[2:5], v[2:3], off
	ds_write_b128 v78, v[6:9] offset:128
	s_waitcnt vmcnt(0)
	v_mul_f64 v[6:7], v[4:5], s[10:11]
	v_fma_f64 v[6:7], v[2:3], s[8:9], v[6:7]
	v_mul_f64 v[2:3], v[2:3], s[10:11]
	v_fma_f64 v[8:9], v[4:5], s[8:9], -v[2:3]
	v_mad_u64_u32 v[2:3], s[0:1], s68, v83, v[0:1]
	s_mul_i32 s0, s69, 0xa0
	v_add_u32_e32 v3, s0, v3
	global_load_dwordx4 v[2:5], v[2:3], off
	ds_write_b128 v78, v[6:9] offset:144
	s_waitcnt vmcnt(0)
	v_mul_f64 v[6:7], v[4:5], s[14:15]
	v_fma_f64 v[6:7], v[2:3], s[12:13], v[6:7]
	v_mul_f64 v[2:3], v[2:3], s[14:15]
	v_fma_f64 v[8:9], v[4:5], s[12:13], -v[2:3]
	v_mad_u64_u32 v[2:3], s[0:1], s68, v79, v[0:1]
	s_mul_i32 s0, s69, 0xb0
	v_writelane_b32 v145, s4, 18
	v_add_u32_e32 v3, s0, v3
	global_load_dwordx4 v[2:5], v[2:3], off
	v_writelane_b32 v145, s5, 19
	ds_write_b128 v78, v[6:9] offset:160
	v_writelane_b32 v145, s6, 20
	v_writelane_b32 v145, s7, 21
	v_writelane_b32 v145, s8, 22
	v_writelane_b32 v145, s9, 23
	v_writelane_b32 v145, s10, 24
	v_writelane_b32 v145, s11, 25
	v_writelane_b32 v145, s12, 26
	v_writelane_b32 v145, s13, 27
	v_writelane_b32 v145, s14, 28
	v_writelane_b32 v145, s15, 29
	v_writelane_b32 v145, s16, 30
	v_writelane_b32 v145, s17, 31
	v_writelane_b32 v145, s18, 32
	v_writelane_b32 v145, s19, 33
	v_writelane_b32 v145, s20, 34
	v_writelane_b32 v145, s21, 35
	s_mov_b32 s4, 0x2a9d6da3
	s_mov_b32 s5, 0xbfe58eea
	;; [unrolled: 1-line block ×11, first 2 shown]
	s_waitcnt vmcnt(0)
	v_mul_f64 v[6:7], v[4:5], s[18:19]
	v_fma_f64 v[6:7], v[2:3], s[16:17], v[6:7]
	v_mul_f64 v[2:3], v[2:3], s[18:19]
	s_mov_b32 s18, 0x7c9e640b
	s_mov_b32 s19, 0xbfeca52d
	;; [unrolled: 1-line block ×3, first 2 shown]
	v_fma_f64 v[8:9], v[4:5], s[16:17], -v[2:3]
	v_mad_u64_u32 v[2:3], s[0:1], s68, v81, v[0:1]
	s_mul_i32 s0, s69, 0xc0
	s_mov_b32 s17, 0x3fd71e95
	v_add_u32_e32 v3, s0, v3
	global_load_dwordx4 v[2:5], v[2:3], off
	s_mov_b32 s16, s26
	ds_write_b128 v78, v[6:9] offset:176
	s_waitcnt vmcnt(0)
	v_mul_f64 v[6:7], v[4:5], s[38:39]
	v_fma_f64 v[6:7], v[2:3], s[36:37], v[6:7]
	v_mul_f64 v[2:3], v[2:3], s[38:39]
	v_fma_f64 v[8:9], v[4:5], s[36:37], -v[2:3]
	v_mad_u64_u32 v[2:3], s[0:1], s68, v80, v[0:1]
	s_mul_i32 s0, s69, 0xd0
	v_add_u32_e32 v3, s0, v3
	global_load_dwordx4 v[2:5], v[2:3], off
	ds_write_b128 v78, v[6:9] offset:192
	s_waitcnt vmcnt(0)
	v_mul_f64 v[6:7], v[4:5], s[42:43]
	v_fma_f64 v[6:7], v[2:3], s[40:41], v[6:7]
	v_mul_f64 v[2:3], v[2:3], s[42:43]
	v_fma_f64 v[8:9], v[4:5], s[40:41], -v[2:3]
	v_mad_u64_u32 v[2:3], s[0:1], s68, v88, v[0:1]
	s_mul_i32 s0, s69, 0xe0
	v_add_u32_e32 v3, s0, v3
	global_load_dwordx4 v[2:5], v[2:3], off
	;; [unrolled: 10-line block ×3, first 2 shown]
	s_lshl_b64 s[0:1], s[68:69], 8
	ds_write_b128 v78, v[6:9] offset:224
	v_add_co_u32_e32 v0, vcc, s0, v0
	s_load_dwordx16 s[68:83], s[20:21], 0x100
	s_mov_b32 s20, 0xacd6c6b4
	s_mov_b32 s21, 0xbfc7851a
	s_mov_b32 s28, s20
	s_waitcnt vmcnt(0)
	v_mul_f64 v[6:7], v[4:5], s[50:51]
	v_fma_f64 v[6:7], v[2:3], s[48:49], v[6:7]
	v_mul_f64 v[2:3], v[2:3], s[50:51]
	v_fma_f64 v[8:9], v[4:5], s[48:49], -v[2:3]
	v_mov_b32_e32 v2, s1
	v_addc_co_u32_e32 v1, vcc, v1, v2, vcc
	global_load_dwordx4 v[0:3], v[0:1], off
	s_mov_b32 vcc_lo, 0x6c9a05f6
	s_mov_b32 vcc_hi, 0xbfe9895b
	s_mov_b32 s0, 0x910ea3b9
	ds_write_b128 v78, v[6:9] offset:240
	s_mov_b32 s1, 0xbfeb34fa
	s_mov_b32 s24, vcc_lo
	s_waitcnt vmcnt(0) lgkmcnt(0)
	v_mul_f64 v[4:5], v[2:3], s[70:71]
	v_fma_f64 v[4:5], v[0:1], s[68:69], v[4:5]
	v_mul_f64 v[0:1], v[0:1], s[70:71]
	v_fma_f64 v[6:7], v[2:3], s[68:69], -v[0:1]
	ds_write_b128 v78, v[4:7] offset:256
	s_waitcnt lgkmcnt(0)
	s_barrier
	ds_read_b128 v[60:63], v78
	ds_read_b128 v[66:69], v78 offset:16
	ds_read_b128 v[52:55], v78 offset:32
	;; [unrolled: 1-line block ×16, first 2 shown]
	s_waitcnt lgkmcnt(14)
	v_add_f64 v[0:1], v[60:61], v[66:67]
	v_add_f64 v[2:3], v[62:63], v[68:69]
	s_waitcnt lgkmcnt(0)
	v_add_f64 v[76:77], v[68:69], v[72:73]
	v_add_f64 v[68:69], v[68:69], -v[72:73]
	v_add_f64 v[74:75], v[66:67], v[70:71]
	v_add_f64 v[66:67], v[66:67], -v[70:71]
	v_add_f64 v[0:1], v[0:1], v[52:53]
	v_add_f64 v[2:3], v[2:3], v[54:55]
	v_mul_f64 v[93:94], v[68:69], s[4:5]
	v_mul_f64 v[101:102], v[68:69], s[18:19]
	;; [unrolled: 1-line block ×3, first 2 shown]
	v_add_f64 v[0:1], v[0:1], v[44:45]
	v_add_f64 v[2:3], v[2:3], v[46:47]
	v_mul_f64 v[117:118], v[68:69], s[86:87]
	v_mul_f64 v[125:126], v[68:69], vcc
	v_mul_f64 v[133:134], v[68:69], s[92:93]
	v_mul_f64 v[89:90], v[66:67], s[26:27]
	v_fma_f64 v[95:96], v[74:75], s[8:9], -v[93:94]
	v_mul_f64 v[97:98], v[66:67], s[4:5]
	v_add_f64 v[0:1], v[0:1], v[36:37]
	v_add_f64 v[2:3], v[2:3], v[38:39]
	v_fma_f64 v[93:94], v[74:75], s[8:9], v[93:94]
	v_fma_f64 v[103:104], v[74:75], s[94:95], -v[101:102]
	v_mul_f64 v[105:106], v[66:67], s[18:19]
	v_fma_f64 v[101:102], v[74:75], s[94:95], v[101:102]
	v_fma_f64 v[111:112], v[74:75], s[90:91], -v[109:110]
	v_mul_f64 v[113:114], v[66:67], s[84:85]
	v_add_f64 v[0:1], v[0:1], v[28:29]
	v_add_f64 v[2:3], v[2:3], v[30:31]
	v_fma_f64 v[109:110], v[74:75], s[90:91], v[109:110]
	v_fma_f64 v[119:120], v[74:75], s[10:11], -v[117:118]
	v_mul_f64 v[121:122], v[66:67], s[86:87]
	v_fma_f64 v[117:118], v[74:75], s[10:11], v[117:118]
	v_fma_f64 v[127:128], v[74:75], s[6:7], -v[125:126]
	v_mul_f64 v[129:130], v[66:67], vcc
	v_add_f64 v[0:1], v[0:1], v[20:21]
	v_add_f64 v[2:3], v[2:3], v[22:23]
	v_fma_f64 v[125:126], v[74:75], s[6:7], v[125:126]
	v_fma_f64 v[135:136], v[74:75], s[0:1], -v[133:134]
	v_mul_f64 v[137:138], v[66:67], s[92:93]
	v_fma_f64 v[133:134], v[74:75], s[0:1], v[133:134]
	v_mul_f64 v[66:67], v[66:67], s[20:21]
	v_fma_f64 v[91:92], v[76:77], s[2:3], v[89:90]
	v_add_f64 v[0:1], v[0:1], v[12:13]
	v_add_f64 v[2:3], v[2:3], v[14:15]
	v_fma_f64 v[89:90], v[76:77], s[2:3], -v[89:90]
	v_add_f64 v[95:96], v[60:61], v[95:96]
	v_fma_f64 v[99:100], v[76:77], s[8:9], v[97:98]
	v_add_f64 v[93:94], v[60:61], v[93:94]
	v_fma_f64 v[97:98], v[76:77], s[8:9], -v[97:98]
	v_add_f64 v[103:104], v[60:61], v[103:104]
	v_add_f64 v[0:1], v[0:1], v[4:5]
	;; [unrolled: 1-line block ×3, first 2 shown]
	v_fma_f64 v[107:108], v[76:77], s[94:95], v[105:106]
	v_add_f64 v[101:102], v[60:61], v[101:102]
	v_fma_f64 v[105:106], v[76:77], s[94:95], -v[105:106]
	v_add_f64 v[111:112], v[60:61], v[111:112]
	v_fma_f64 v[115:116], v[76:77], s[90:91], v[113:114]
	v_add_f64 v[109:110], v[60:61], v[109:110]
	v_add_f64 v[0:1], v[0:1], v[8:9]
	;; [unrolled: 1-line block ×3, first 2 shown]
	v_fma_f64 v[113:114], v[76:77], s[90:91], -v[113:114]
	v_add_f64 v[119:120], v[60:61], v[119:120]
	v_fma_f64 v[123:124], v[76:77], s[10:11], v[121:122]
	v_add_f64 v[117:118], v[60:61], v[117:118]
	v_fma_f64 v[121:122], v[76:77], s[10:11], -v[121:122]
	v_add_f64 v[127:128], v[60:61], v[127:128]
	v_add_f64 v[0:1], v[0:1], v[16:17]
	;; [unrolled: 1-line block ×3, first 2 shown]
	v_fma_f64 v[131:132], v[76:77], s[6:7], v[129:130]
	v_add_f64 v[125:126], v[60:61], v[125:126]
	v_fma_f64 v[129:130], v[76:77], s[6:7], -v[129:130]
	v_add_f64 v[135:136], v[60:61], v[135:136]
	v_fma_f64 v[139:140], v[76:77], s[0:1], v[137:138]
	v_add_f64 v[133:134], v[60:61], v[133:134]
	v_add_f64 v[0:1], v[0:1], v[24:25]
	;; [unrolled: 1-line block ×3, first 2 shown]
	v_fma_f64 v[137:138], v[76:77], s[0:1], -v[137:138]
	v_fma_f64 v[143:144], v[76:77], s[22:23], v[66:67]
	v_fma_f64 v[66:67], v[76:77], s[22:23], -v[66:67]
	v_add_f64 v[91:92], v[62:63], v[91:92]
	v_add_f64 v[89:90], v[62:63], v[89:90]
	;; [unrolled: 1-line block ×23, first 2 shown]
	v_add_f64 v[52:53], v[52:53], -v[56:57]
	v_add_f64 v[0:1], v[0:1], v[56:57]
	v_add_f64 v[2:3], v[2:3], v[58:59]
	;; [unrolled: 1-line block ×3, first 2 shown]
	v_mul_f64 v[70:71], v[68:69], s[26:27]
	v_mul_f64 v[68:69], v[68:69], s[20:21]
	v_add_f64 v[2:3], v[2:3], v[72:73]
	v_fma_f64 v[72:73], v[74:75], s[2:3], -v[70:71]
	v_fma_f64 v[70:71], v[74:75], s[2:3], v[70:71]
	v_fma_f64 v[141:142], v[74:75], s[22:23], -v[68:69]
	v_fma_f64 v[68:69], v[74:75], s[22:23], v[68:69]
	v_add_f64 v[72:73], v[60:61], v[72:73]
	v_add_f64 v[70:71], v[60:61], v[70:71]
	v_add_f64 v[141:142], v[60:61], v[141:142]
	v_add_f64 v[60:61], v[60:61], v[68:69]
	v_add_f64 v[68:69], v[54:55], v[58:59]
	v_add_f64 v[54:55], v[54:55], -v[58:59]
	v_mul_f64 v[56:57], v[54:55], s[4:5]
	v_fma_f64 v[58:59], v[66:67], s[8:9], -v[56:57]
	v_fma_f64 v[56:57], v[66:67], s[8:9], v[56:57]
	v_add_f64 v[58:59], v[58:59], v[72:73]
	v_mul_f64 v[72:73], v[52:53], s[4:5]
	v_add_f64 v[56:57], v[56:57], v[70:71]
	s_mov_b32 s5, 0x3fe58eea
	v_fma_f64 v[74:75], v[68:69], s[8:9], v[72:73]
	v_fma_f64 v[70:71], v[68:69], s[8:9], -v[72:73]
	v_mul_f64 v[72:73], v[54:55], s[84:85]
	v_add_f64 v[74:75], v[74:75], v[91:92]
	v_add_f64 v[70:71], v[70:71], v[89:90]
	v_fma_f64 v[76:77], v[66:67], s[90:91], -v[72:73]
	v_mul_f64 v[89:90], v[52:53], s[84:85]
	v_fma_f64 v[72:73], v[66:67], s[90:91], v[72:73]
	v_add_f64 v[76:77], v[76:77], v[95:96]
	v_fma_f64 v[91:92], v[68:69], s[90:91], v[89:90]
	v_add_f64 v[72:73], v[72:73], v[93:94]
	v_fma_f64 v[89:90], v[68:69], s[90:91], -v[89:90]
	v_mul_f64 v[93:94], v[54:55], vcc
	v_add_f64 v[91:92], v[91:92], v[99:100]
	v_add_f64 v[89:90], v[89:90], v[97:98]
	v_fma_f64 v[95:96], v[66:67], s[6:7], -v[93:94]
	v_mul_f64 v[97:98], v[52:53], vcc
	v_fma_f64 v[93:94], v[66:67], s[6:7], v[93:94]
	v_add_f64 v[95:96], v[95:96], v[103:104]
	v_fma_f64 v[99:100], v[68:69], s[6:7], v[97:98]
	v_add_f64 v[93:94], v[93:94], v[101:102]
	v_fma_f64 v[97:98], v[68:69], s[6:7], -v[97:98]
	v_mul_f64 v[101:102], v[54:55], s[20:21]
	v_add_f64 v[99:100], v[99:100], v[107:108]
	v_add_f64 v[97:98], v[97:98], v[105:106]
	v_fma_f64 v[103:104], v[66:67], s[22:23], -v[101:102]
	v_mul_f64 v[105:106], v[52:53], s[20:21]
	v_fma_f64 v[101:102], v[66:67], s[22:23], v[101:102]
	v_add_f64 v[103:104], v[103:104], v[111:112]
	v_fma_f64 v[107:108], v[68:69], s[22:23], v[105:106]
	v_add_f64 v[101:102], v[101:102], v[109:110]
	v_fma_f64 v[105:106], v[68:69], s[22:23], -v[105:106]
	v_mul_f64 v[109:110], v[54:55], s[34:35]
	v_add_f64 v[107:108], v[107:108], v[115:116]
	v_add_f64 v[105:106], v[105:106], v[113:114]
	v_fma_f64 v[111:112], v[66:67], s[0:1], -v[109:110]
	v_mul_f64 v[113:114], v[52:53], s[34:35]
	;; [unrolled: 10-line block ×3, first 2 shown]
	v_fma_f64 v[117:118], v[66:67], s[10:11], v[117:118]
	v_add_f64 v[119:120], v[119:120], v[127:128]
	v_fma_f64 v[123:124], v[68:69], s[10:11], v[121:122]
	v_add_f64 v[117:118], v[117:118], v[125:126]
	v_fma_f64 v[121:122], v[68:69], s[10:11], -v[121:122]
	v_mul_f64 v[125:126], v[54:55], s[12:13]
	v_mul_f64 v[54:55], v[54:55], s[16:17]
	v_add_f64 v[123:124], v[123:124], v[131:132]
	v_add_f64 v[121:122], v[121:122], v[129:130]
	v_fma_f64 v[127:128], v[66:67], s[94:95], -v[125:126]
	v_mul_f64 v[129:130], v[52:53], s[12:13]
	v_mul_f64 v[52:53], v[52:53], s[16:17]
	v_fma_f64 v[125:126], v[66:67], s[94:95], v[125:126]
	v_add_f64 v[127:128], v[127:128], v[135:136]
	v_fma_f64 v[131:132], v[68:69], s[94:95], v[129:130]
	v_fma_f64 v[135:136], v[68:69], s[2:3], v[52:53]
	v_fma_f64 v[52:53], v[68:69], s[2:3], -v[52:53]
	v_add_f64 v[125:126], v[125:126], v[133:134]
	v_fma_f64 v[133:134], v[66:67], s[2:3], -v[54:55]
	v_fma_f64 v[54:55], v[66:67], s[2:3], v[54:55]
	v_fma_f64 v[129:130], v[68:69], s[94:95], -v[129:130]
	v_add_f64 v[131:132], v[131:132], v[139:140]
	v_add_f64 v[135:136], v[135:136], v[143:144]
	;; [unrolled: 1-line block ×4, first 2 shown]
	v_add_f64 v[46:47], v[46:47], -v[50:51]
	v_add_f64 v[54:55], v[54:55], v[60:61]
	v_add_f64 v[60:61], v[44:45], v[48:49]
	v_add_f64 v[44:45], v[44:45], -v[48:49]
	v_add_f64 v[133:134], v[133:134], v[141:142]
	v_add_f64 v[129:130], v[129:130], v[137:138]
	v_mul_f64 v[48:49], v[46:47], s[18:19]
	v_fma_f64 v[50:51], v[60:61], s[94:95], -v[48:49]
	v_fma_f64 v[48:49], v[60:61], s[94:95], v[48:49]
	v_add_f64 v[50:51], v[50:51], v[58:59]
	v_mul_f64 v[58:59], v[44:45], s[18:19]
	v_add_f64 v[48:49], v[48:49], v[56:57]
	v_fma_f64 v[66:67], v[62:63], s[94:95], v[58:59]
	v_fma_f64 v[56:57], v[62:63], s[94:95], -v[58:59]
	v_mul_f64 v[58:59], v[46:47], vcc
	v_add_f64 v[66:67], v[66:67], v[74:75]
	v_add_f64 v[56:57], v[56:57], v[70:71]
	v_fma_f64 v[68:69], v[60:61], s[6:7], -v[58:59]
	v_fma_f64 v[58:59], v[60:61], s[6:7], v[58:59]
	v_mul_f64 v[70:71], v[44:45], vcc
	v_add_f64 v[68:69], v[68:69], v[76:77]
	v_add_f64 v[58:59], v[58:59], v[72:73]
	v_mul_f64 v[72:73], v[46:47], s[28:29]
	v_fma_f64 v[74:75], v[62:63], s[6:7], v[70:71]
	v_fma_f64 v[70:71], v[62:63], s[6:7], -v[70:71]
	v_fma_f64 v[76:77], v[60:61], s[22:23], -v[72:73]
	v_fma_f64 v[72:73], v[60:61], s[22:23], v[72:73]
	v_add_f64 v[70:71], v[70:71], v[89:90]
	v_mul_f64 v[89:90], v[44:45], s[28:29]
	v_add_f64 v[74:75], v[74:75], v[91:92]
	v_add_f64 v[76:77], v[76:77], v[95:96]
	v_add_f64 v[72:73], v[72:73], v[93:94]
	v_mul_f64 v[93:94], v[46:47], s[14:15]
	v_fma_f64 v[91:92], v[62:63], s[22:23], v[89:90]
	v_fma_f64 v[89:90], v[62:63], s[22:23], -v[89:90]
	v_fma_f64 v[95:96], v[60:61], s[10:11], -v[93:94]
	v_fma_f64 v[93:94], v[60:61], s[10:11], v[93:94]
	v_add_f64 v[89:90], v[89:90], v[97:98]
	v_mul_f64 v[97:98], v[44:45], s[14:15]
	v_add_f64 v[91:92], v[91:92], v[99:100]
	;; [unrolled: 10-line block ×4, first 2 shown]
	v_add_f64 v[111:112], v[111:112], v[119:120]
	v_add_f64 v[109:110], v[109:110], v[117:118]
	v_mul_f64 v[117:118], v[46:47], s[84:85]
	v_fma_f64 v[115:116], v[62:63], s[2:3], v[113:114]
	v_fma_f64 v[113:114], v[62:63], s[2:3], -v[113:114]
	v_mul_f64 v[46:47], v[46:47], s[92:93]
	v_fma_f64 v[119:120], v[60:61], s[90:91], -v[117:118]
	v_fma_f64 v[117:118], v[60:61], s[90:91], v[117:118]
	v_add_f64 v[113:114], v[113:114], v[121:122]
	v_mul_f64 v[121:122], v[44:45], s[84:85]
	v_mul_f64 v[44:45], v[44:45], s[92:93]
	v_add_f64 v[115:116], v[115:116], v[123:124]
	v_add_f64 v[119:120], v[119:120], v[127:128]
	;; [unrolled: 1-line block ×3, first 2 shown]
	v_fma_f64 v[125:126], v[60:61], s[0:1], -v[46:47]
	v_fma_f64 v[46:47], v[60:61], s[0:1], v[46:47]
	v_fma_f64 v[127:128], v[62:63], s[0:1], v[44:45]
	v_fma_f64 v[44:45], v[62:63], s[0:1], -v[44:45]
	v_fma_f64 v[123:124], v[62:63], s[90:91], v[121:122]
	v_fma_f64 v[121:122], v[62:63], s[90:91], -v[121:122]
	v_add_f64 v[125:126], v[125:126], v[133:134]
	v_add_f64 v[46:47], v[46:47], v[54:55]
	;; [unrolled: 1-line block ×3, first 2 shown]
	v_add_f64 v[38:39], v[38:39], -v[42:43]
	v_add_f64 v[44:45], v[44:45], v[52:53]
	v_add_f64 v[52:53], v[36:37], v[40:41]
	v_add_f64 v[36:37], v[36:37], -v[40:41]
	v_add_f64 v[123:124], v[123:124], v[131:132]
	v_add_f64 v[121:122], v[121:122], v[129:130]
	v_add_f64 v[127:128], v[127:128], v[135:136]
	v_mul_f64 v[40:41], v[38:39], s[84:85]
	v_mul_f64 v[62:63], v[36:37], s[20:21]
	v_fma_f64 v[42:43], v[52:53], s[90:91], -v[40:41]
	v_fma_f64 v[40:41], v[52:53], s[90:91], v[40:41]
	v_add_f64 v[42:43], v[42:43], v[50:51]
	v_mul_f64 v[50:51], v[36:37], s[84:85]
	v_add_f64 v[40:41], v[40:41], v[48:49]
	v_fma_f64 v[60:61], v[54:55], s[90:91], v[50:51]
	v_fma_f64 v[48:49], v[54:55], s[90:91], -v[50:51]
	v_mul_f64 v[50:51], v[38:39], s[20:21]
	v_add_f64 v[60:61], v[60:61], v[66:67]
	v_add_f64 v[48:49], v[48:49], v[56:57]
	v_fma_f64 v[56:57], v[52:53], s[22:23], -v[50:51]
	v_fma_f64 v[50:51], v[52:53], s[22:23], v[50:51]
	v_fma_f64 v[66:67], v[54:55], s[22:23], v[62:63]
	v_add_f64 v[56:57], v[56:57], v[68:69]
	v_add_f64 v[50:51], v[50:51], v[58:59]
	v_fma_f64 v[58:59], v[54:55], s[22:23], -v[62:63]
	v_mul_f64 v[62:63], v[38:39], s[14:15]
	v_add_f64 v[66:67], v[66:67], v[74:75]
	v_add_f64 v[58:59], v[58:59], v[70:71]
	v_fma_f64 v[68:69], v[52:53], s[10:11], -v[62:63]
	v_fma_f64 v[62:63], v[52:53], s[10:11], v[62:63]
	v_mul_f64 v[70:71], v[36:37], s[14:15]
	v_add_f64 v[68:69], v[68:69], v[76:77]
	v_add_f64 v[62:63], v[62:63], v[72:73]
	v_mul_f64 v[72:73], v[38:39], s[16:17]
	v_fma_f64 v[74:75], v[54:55], s[10:11], v[70:71]
	v_fma_f64 v[70:71], v[54:55], s[10:11], -v[70:71]
	v_fma_f64 v[76:77], v[52:53], s[2:3], -v[72:73]
	v_fma_f64 v[72:73], v[52:53], s[2:3], v[72:73]
	v_add_f64 v[70:71], v[70:71], v[89:90]
	v_mul_f64 v[89:90], v[36:37], s[16:17]
	v_add_f64 v[74:75], v[74:75], v[91:92]
	v_add_f64 v[76:77], v[76:77], v[95:96]
	v_add_f64 v[72:73], v[72:73], v[93:94]
	v_mul_f64 v[93:94], v[38:39], s[18:19]
	v_fma_f64 v[91:92], v[54:55], s[2:3], v[89:90]
	v_fma_f64 v[89:90], v[54:55], s[2:3], -v[89:90]
	v_fma_f64 v[95:96], v[52:53], s[94:95], -v[93:94]
	v_fma_f64 v[93:94], v[52:53], s[94:95], v[93:94]
	v_add_f64 v[89:90], v[89:90], v[97:98]
	v_mul_f64 v[97:98], v[36:37], s[18:19]
	v_add_f64 v[91:92], v[91:92], v[99:100]
	;; [unrolled: 10-line block ×3, first 2 shown]
	v_add_f64 v[103:104], v[103:104], v[111:112]
	v_add_f64 v[101:102], v[101:102], v[109:110]
	v_mul_f64 v[109:110], v[38:39], s[24:25]
	v_fma_f64 v[107:108], v[54:55], s[0:1], v[105:106]
	v_fma_f64 v[105:106], v[54:55], s[0:1], -v[105:106]
	v_mul_f64 v[38:39], v[38:39], s[4:5]
	v_fma_f64 v[111:112], v[52:53], s[6:7], -v[109:110]
	v_fma_f64 v[109:110], v[52:53], s[6:7], v[109:110]
	v_add_f64 v[105:106], v[105:106], v[113:114]
	v_mul_f64 v[113:114], v[36:37], s[24:25]
	v_mul_f64 v[36:37], v[36:37], s[4:5]
	v_add_f64 v[107:108], v[107:108], v[115:116]
	v_add_f64 v[111:112], v[111:112], v[119:120]
	;; [unrolled: 1-line block ×3, first 2 shown]
	v_fma_f64 v[117:118], v[52:53], s[8:9], -v[38:39]
	v_fma_f64 v[38:39], v[52:53], s[8:9], v[38:39]
	v_fma_f64 v[119:120], v[54:55], s[8:9], v[36:37]
	v_fma_f64 v[36:37], v[54:55], s[8:9], -v[36:37]
	v_fma_f64 v[115:116], v[54:55], s[6:7], v[113:114]
	v_fma_f64 v[113:114], v[54:55], s[6:7], -v[113:114]
	v_add_f64 v[117:118], v[117:118], v[125:126]
	v_add_f64 v[38:39], v[38:39], v[46:47]
	;; [unrolled: 1-line block ×3, first 2 shown]
	v_add_f64 v[30:31], v[30:31], -v[34:35]
	v_add_f64 v[36:37], v[36:37], v[44:45]
	v_add_f64 v[44:45], v[28:29], v[32:33]
	v_add_f64 v[28:29], v[28:29], -v[32:33]
	v_add_f64 v[115:116], v[115:116], v[123:124]
	v_add_f64 v[113:114], v[113:114], v[121:122]
	;; [unrolled: 1-line block ×3, first 2 shown]
	v_mul_f64 v[32:33], v[30:31], s[86:87]
	v_mul_f64 v[54:55], v[28:29], s[34:35]
	v_fma_f64 v[34:35], v[44:45], s[10:11], -v[32:33]
	v_fma_f64 v[32:33], v[44:45], s[10:11], v[32:33]
	v_add_f64 v[34:35], v[34:35], v[42:43]
	v_mul_f64 v[42:43], v[28:29], s[86:87]
	v_add_f64 v[32:33], v[32:33], v[40:41]
	v_fma_f64 v[52:53], v[46:47], s[10:11], v[42:43]
	v_fma_f64 v[40:41], v[46:47], s[10:11], -v[42:43]
	v_mul_f64 v[42:43], v[30:31], s[34:35]
	v_add_f64 v[52:53], v[52:53], v[60:61]
	v_add_f64 v[40:41], v[40:41], v[48:49]
	v_fma_f64 v[48:49], v[44:45], s[0:1], -v[42:43]
	v_fma_f64 v[42:43], v[44:45], s[0:1], v[42:43]
	v_mul_f64 v[60:61], v[28:29], s[4:5]
	v_add_f64 v[48:49], v[48:49], v[56:57]
	v_fma_f64 v[56:57], v[46:47], s[0:1], v[54:55]
	v_add_f64 v[42:43], v[42:43], v[50:51]
	v_fma_f64 v[50:51], v[46:47], s[0:1], -v[54:55]
	v_mul_f64 v[54:55], v[30:31], s[4:5]
	v_add_f64 v[56:57], v[56:57], v[66:67]
	v_fma_f64 v[66:67], v[46:47], s[8:9], v[60:61]
	v_add_f64 v[50:51], v[50:51], v[58:59]
	v_fma_f64 v[58:59], v[44:45], s[8:9], -v[54:55]
	v_fma_f64 v[54:55], v[44:45], s[8:9], v[54:55]
	v_fma_f64 v[60:61], v[46:47], s[8:9], -v[60:61]
	v_add_f64 v[66:67], v[66:67], v[74:75]
	v_add_f64 v[58:59], v[58:59], v[68:69]
	;; [unrolled: 1-line block ×3, first 2 shown]
	v_mul_f64 v[62:63], v[30:31], s[18:19]
	v_add_f64 v[60:61], v[60:61], v[70:71]
	v_mul_f64 v[70:71], v[28:29], s[18:19]
	s_mov_b32 s19, 0x3fefdd0d
	s_mov_b32 s18, s84
	v_fma_f64 v[68:69], v[44:45], s[94:95], -v[62:63]
	v_fma_f64 v[62:63], v[44:45], s[94:95], v[62:63]
	v_fma_f64 v[74:75], v[46:47], s[94:95], v[70:71]
	v_fma_f64 v[70:71], v[46:47], s[94:95], -v[70:71]
	v_add_f64 v[68:69], v[68:69], v[76:77]
	v_add_f64 v[62:63], v[62:63], v[72:73]
	v_mul_f64 v[72:73], v[30:31], s[20:21]
	v_add_f64 v[70:71], v[70:71], v[89:90]
	v_mul_f64 v[89:90], v[28:29], s[20:21]
	v_add_f64 v[74:75], v[74:75], v[91:92]
	v_fma_f64 v[76:77], v[44:45], s[22:23], -v[72:73]
	v_fma_f64 v[72:73], v[44:45], s[22:23], v[72:73]
	v_fma_f64 v[91:92], v[46:47], s[22:23], v[89:90]
	v_fma_f64 v[89:90], v[46:47], s[22:23], -v[89:90]
	v_add_f64 v[76:77], v[76:77], v[95:96]
	v_add_f64 v[72:73], v[72:73], v[93:94]
	v_mul_f64 v[93:94], v[30:31], s[18:19]
	v_add_f64 v[89:90], v[89:90], v[97:98]
	v_mul_f64 v[97:98], v[28:29], s[18:19]
	v_add_f64 v[91:92], v[91:92], v[99:100]
	v_fma_f64 v[95:96], v[44:45], s[90:91], -v[93:94]
	v_fma_f64 v[93:94], v[44:45], s[90:91], v[93:94]
	v_fma_f64 v[99:100], v[46:47], s[90:91], v[97:98]
	v_fma_f64 v[97:98], v[46:47], s[90:91], -v[97:98]
	v_add_f64 v[95:96], v[95:96], v[103:104]
	v_add_f64 v[93:94], v[93:94], v[101:102]
	v_mul_f64 v[101:102], v[30:31], s[26:27]
	v_mul_f64 v[30:31], v[30:31], vcc
	v_add_f64 v[97:98], v[97:98], v[105:106]
	v_mul_f64 v[105:106], v[28:29], s[26:27]
	v_mul_f64 v[28:29], v[28:29], vcc
	v_add_f64 v[99:100], v[99:100], v[107:108]
	v_fma_f64 v[103:104], v[44:45], s[2:3], -v[101:102]
	v_fma_f64 v[101:102], v[44:45], s[2:3], v[101:102]
	v_fma_f64 v[107:108], v[46:47], s[2:3], v[105:106]
	v_fma_f64 v[105:106], v[46:47], s[2:3], -v[105:106]
	v_add_f64 v[103:104], v[103:104], v[111:112]
	v_add_f64 v[101:102], v[101:102], v[109:110]
	v_fma_f64 v[109:110], v[44:45], s[6:7], -v[30:31]
	v_fma_f64 v[30:31], v[44:45], s[6:7], v[30:31]
	v_fma_f64 v[111:112], v[46:47], s[6:7], v[28:29]
	v_fma_f64 v[28:29], v[46:47], s[6:7], -v[28:29]
	v_add_f64 v[107:108], v[107:108], v[115:116]
	v_add_f64 v[105:106], v[105:106], v[113:114]
	;; [unrolled: 1-line block ×5, first 2 shown]
	v_add_f64 v[22:23], v[22:23], -v[26:27]
	v_add_f64 v[28:29], v[28:29], v[36:37]
	v_add_f64 v[36:37], v[20:21], v[24:25]
	v_add_f64 v[20:21], v[20:21], -v[24:25]
	v_add_f64 v[111:112], v[111:112], v[119:120]
	v_mul_f64 v[24:25], v[22:23], vcc
	v_mul_f64 v[46:47], v[20:21], s[14:15]
	v_fma_f64 v[26:27], v[36:37], s[6:7], -v[24:25]
	v_fma_f64 v[24:25], v[36:37], s[6:7], v[24:25]
	v_add_f64 v[26:27], v[26:27], v[34:35]
	v_mul_f64 v[34:35], v[20:21], vcc
	v_add_f64 v[24:25], v[24:25], v[32:33]
	v_fma_f64 v[44:45], v[38:39], s[6:7], v[34:35]
	v_fma_f64 v[32:33], v[38:39], s[6:7], -v[34:35]
	v_mul_f64 v[34:35], v[22:23], s[14:15]
	v_add_f64 v[44:45], v[44:45], v[52:53]
	v_add_f64 v[32:33], v[32:33], v[40:41]
	v_fma_f64 v[40:41], v[36:37], s[10:11], -v[34:35]
	v_fma_f64 v[34:35], v[36:37], s[10:11], v[34:35]
	v_mul_f64 v[52:53], v[20:21], s[26:27]
	v_add_f64 v[40:41], v[40:41], v[48:49]
	v_fma_f64 v[48:49], v[38:39], s[10:11], v[46:47]
	v_add_f64 v[34:35], v[34:35], v[42:43]
	v_fma_f64 v[42:43], v[38:39], s[10:11], -v[46:47]
	v_mul_f64 v[46:47], v[22:23], s[26:27]
	v_add_f64 v[48:49], v[48:49], v[56:57]
	v_fma_f64 v[56:57], v[38:39], s[2:3], v[52:53]
	v_add_f64 v[42:43], v[42:43], v[50:51]
	v_fma_f64 v[50:51], v[36:37], s[2:3], -v[46:47]
	v_fma_f64 v[46:47], v[36:37], s[2:3], v[46:47]
	v_fma_f64 v[52:53], v[38:39], s[2:3], -v[52:53]
	v_add_f64 v[56:57], v[56:57], v[66:67]
	v_add_f64 v[50:51], v[50:51], v[58:59]
	;; [unrolled: 1-line block ×3, first 2 shown]
	v_mul_f64 v[54:55], v[22:23], s[92:93]
	v_add_f64 v[52:53], v[52:53], v[60:61]
	v_mul_f64 v[60:61], v[20:21], s[92:93]
	v_fma_f64 v[58:59], v[36:37], s[0:1], -v[54:55]
	v_fma_f64 v[54:55], v[36:37], s[0:1], v[54:55]
	v_fma_f64 v[66:67], v[38:39], s[0:1], v[60:61]
	v_fma_f64 v[60:61], v[38:39], s[0:1], -v[60:61]
	v_add_f64 v[58:59], v[58:59], v[68:69]
	v_add_f64 v[54:55], v[54:55], v[62:63]
	v_mul_f64 v[62:63], v[22:23], s[18:19]
	v_add_f64 v[60:61], v[60:61], v[70:71]
	v_mul_f64 v[70:71], v[20:21], s[18:19]
	v_add_f64 v[66:67], v[66:67], v[74:75]
	v_fma_f64 v[68:69], v[36:37], s[90:91], -v[62:63]
	v_fma_f64 v[62:63], v[36:37], s[90:91], v[62:63]
	v_fma_f64 v[74:75], v[38:39], s[90:91], v[70:71]
	v_fma_f64 v[70:71], v[38:39], s[90:91], -v[70:71]
	v_add_f64 v[68:69], v[68:69], v[76:77]
	v_add_f64 v[62:63], v[62:63], v[72:73]
	v_mul_f64 v[72:73], v[22:23], s[30:31]
	v_add_f64 v[70:71], v[70:71], v[89:90]
	v_mul_f64 v[89:90], v[20:21], s[30:31]
	v_add_f64 v[74:75], v[74:75], v[91:92]
	v_fma_f64 v[76:77], v[36:37], s[8:9], -v[72:73]
	v_fma_f64 v[72:73], v[36:37], s[8:9], v[72:73]
	v_fma_f64 v[91:92], v[38:39], s[8:9], v[89:90]
	v_fma_f64 v[89:90], v[38:39], s[8:9], -v[89:90]
	v_add_f64 v[76:77], v[76:77], v[95:96]
	v_add_f64 v[72:73], v[72:73], v[93:94]
	v_mul_f64 v[93:94], v[22:23], s[20:21]
	v_mul_f64 v[22:23], v[22:23], s[12:13]
	v_add_f64 v[89:90], v[89:90], v[97:98]
	v_mul_f64 v[97:98], v[20:21], s[20:21]
	v_mul_f64 v[20:21], v[20:21], s[12:13]
	v_add_f64 v[91:92], v[91:92], v[99:100]
	v_fma_f64 v[95:96], v[36:37], s[22:23], -v[93:94]
	v_fma_f64 v[93:94], v[36:37], s[22:23], v[93:94]
	v_fma_f64 v[99:100], v[38:39], s[22:23], v[97:98]
	v_fma_f64 v[97:98], v[38:39], s[22:23], -v[97:98]
	v_add_f64 v[95:96], v[95:96], v[103:104]
	v_add_f64 v[93:94], v[93:94], v[101:102]
	v_fma_f64 v[101:102], v[36:37], s[94:95], -v[22:23]
	v_fma_f64 v[22:23], v[36:37], s[94:95], v[22:23]
	v_fma_f64 v[103:104], v[38:39], s[94:95], v[20:21]
	v_fma_f64 v[20:21], v[38:39], s[94:95], -v[20:21]
	v_add_f64 v[99:100], v[99:100], v[107:108]
	v_add_f64 v[107:108], v[6:7], -v[10:11]
	v_add_f64 v[97:98], v[97:98], v[105:106]
	v_add_f64 v[105:106], v[4:5], -v[8:9]
	v_add_f64 v[101:102], v[101:102], v[109:110]
	v_add_f64 v[22:23], v[22:23], v[30:31]
	;; [unrolled: 1-line block ×3, first 2 shown]
	v_add_f64 v[14:15], v[14:15], -v[18:19]
	v_add_f64 v[20:21], v[20:21], v[28:29]
	v_add_f64 v[28:29], v[12:13], v[16:17]
	v_add_f64 v[12:13], v[12:13], -v[16:17]
	v_add_f64 v[103:104], v[103:104], v[111:112]
	v_mul_f64 v[16:17], v[14:15], s[92:93]
	v_mul_f64 v[38:39], v[12:13], s[12:13]
	v_fma_f64 v[18:19], v[28:29], s[0:1], -v[16:17]
	v_fma_f64 v[16:17], v[28:29], s[0:1], v[16:17]
	v_add_f64 v[18:19], v[18:19], v[26:27]
	v_mul_f64 v[26:27], v[12:13], s[92:93]
	v_add_f64 v[16:17], v[16:17], v[24:25]
	v_fma_f64 v[36:37], v[30:31], s[0:1], v[26:27]
	v_fma_f64 v[24:25], v[30:31], s[0:1], -v[26:27]
	v_mul_f64 v[26:27], v[14:15], s[12:13]
	v_add_f64 v[36:37], v[36:37], v[44:45]
	v_add_f64 v[24:25], v[24:25], v[32:33]
	v_fma_f64 v[32:33], v[28:29], s[94:95], -v[26:27]
	v_fma_f64 v[26:27], v[28:29], s[94:95], v[26:27]
	v_mul_f64 v[44:45], v[12:13], s[84:85]
	v_add_f64 v[32:33], v[32:33], v[40:41]
	v_fma_f64 v[40:41], v[30:31], s[94:95], v[38:39]
	v_add_f64 v[26:27], v[26:27], v[34:35]
	v_fma_f64 v[34:35], v[30:31], s[94:95], -v[38:39]
	v_mul_f64 v[38:39], v[14:15], s[84:85]
	v_add_f64 v[40:41], v[40:41], v[48:49]
	v_fma_f64 v[48:49], v[30:31], s[90:91], v[44:45]
	v_add_f64 v[34:35], v[34:35], v[42:43]
	v_fma_f64 v[42:43], v[28:29], s[90:91], -v[38:39]
	v_fma_f64 v[38:39], v[28:29], s[90:91], v[38:39]
	v_fma_f64 v[44:45], v[30:31], s[90:91], -v[44:45]
	v_add_f64 v[48:49], v[48:49], v[56:57]
	v_add_f64 v[42:43], v[42:43], v[50:51]
	;; [unrolled: 1-line block ×3, first 2 shown]
	v_mul_f64 v[46:47], v[14:15], s[24:25]
	v_add_f64 v[44:45], v[44:45], v[52:53]
	v_mul_f64 v[52:53], v[12:13], s[24:25]
	v_fma_f64 v[50:51], v[28:29], s[6:7], -v[46:47]
	v_fma_f64 v[46:47], v[28:29], s[6:7], v[46:47]
	v_fma_f64 v[56:57], v[30:31], s[6:7], v[52:53]
	v_fma_f64 v[52:53], v[30:31], s[6:7], -v[52:53]
	v_add_f64 v[50:51], v[50:51], v[58:59]
	v_add_f64 v[46:47], v[46:47], v[54:55]
	v_mul_f64 v[54:55], v[14:15], s[26:27]
	v_add_f64 v[52:53], v[52:53], v[60:61]
	v_mul_f64 v[60:61], v[12:13], s[26:27]
	v_add_f64 v[56:57], v[56:57], v[66:67]
	v_readlane_b32 s26, v145, 34
	v_readlane_b32 s27, v145, 35
	v_fma_f64 v[58:59], v[28:29], s[2:3], -v[54:55]
	v_fma_f64 v[54:55], v[28:29], s[2:3], v[54:55]
	v_fma_f64 v[66:67], v[30:31], s[2:3], v[60:61]
	v_fma_f64 v[60:61], v[30:31], s[2:3], -v[60:61]
	v_add_f64 v[58:59], v[58:59], v[68:69]
	v_add_f64 v[54:55], v[54:55], v[62:63]
	v_mul_f64 v[62:63], v[14:15], s[20:21]
	v_add_f64 v[60:61], v[60:61], v[70:71]
	v_mul_f64 v[70:71], v[12:13], s[20:21]
	v_add_f64 v[66:67], v[66:67], v[74:75]
	v_fma_f64 v[68:69], v[28:29], s[22:23], -v[62:63]
	v_fma_f64 v[62:63], v[28:29], s[22:23], v[62:63]
	v_fma_f64 v[74:75], v[30:31], s[22:23], v[70:71]
	v_fma_f64 v[70:71], v[30:31], s[22:23], -v[70:71]
	v_add_f64 v[68:69], v[68:69], v[76:77]
	v_add_f64 v[62:63], v[62:63], v[72:73]
	v_mul_f64 v[72:73], v[14:15], s[4:5]
	v_mul_f64 v[14:15], v[14:15], s[86:87]
	v_add_f64 v[70:71], v[70:71], v[89:90]
	v_mul_f64 v[89:90], v[12:13], s[4:5]
	v_mul_f64 v[12:13], v[12:13], s[86:87]
	v_add_f64 v[74:75], v[74:75], v[91:92]
	v_fma_f64 v[76:77], v[28:29], s[8:9], -v[72:73]
	v_fma_f64 v[72:73], v[28:29], s[8:9], v[72:73]
	v_fma_f64 v[91:92], v[30:31], s[8:9], v[89:90]
	v_fma_f64 v[89:90], v[30:31], s[8:9], -v[89:90]
	v_add_f64 v[76:77], v[76:77], v[95:96]
	v_add_f64 v[72:73], v[72:73], v[93:94]
	v_fma_f64 v[93:94], v[28:29], s[10:11], -v[14:15]
	v_fma_f64 v[95:96], v[30:31], s[10:11], v[12:13]
	v_fma_f64 v[12:13], v[30:31], s[10:11], -v[12:13]
	v_add_f64 v[91:92], v[91:92], v[99:100]
	v_fma_f64 v[14:15], v[28:29], s[10:11], v[14:15]
	v_add_f64 v[89:90], v[89:90], v[97:98]
	v_add_f64 v[93:94], v[93:94], v[101:102]
	;; [unrolled: 1-line block ×3, first 2 shown]
	v_mul_f64 v[8:9], v[107:108], s[20:21]
	v_add_f64 v[95:96], v[95:96], v[103:104]
	v_add_f64 v[103:104], v[6:7], v[10:11]
	v_mul_f64 v[10:11], v[105:106], s[20:21]
	v_add_f64 v[99:100], v[12:13], v[20:21]
	v_add_f64 v[97:98], v[14:15], v[22:23]
	v_fma_f64 v[4:5], v[101:102], s[22:23], -v[8:9]
	v_fma_f64 v[8:9], v[101:102], s[22:23], v[8:9]
	v_fma_f64 v[6:7], v[103:104], s[22:23], v[10:11]
	v_fma_f64 v[10:11], v[103:104], s[22:23], -v[10:11]
	v_add_f64 v[4:5], v[4:5], v[18:19]
	v_add_f64 v[8:9], v[8:9], v[16:17]
	v_mul_f64 v[16:17], v[107:108], s[16:17]
	v_mul_f64 v[18:19], v[105:106], s[16:17]
	v_add_f64 v[10:11], v[10:11], v[24:25]
	v_mul_f64 v[24:25], v[107:108], s[92:93]
	v_add_f64 v[6:7], v[6:7], v[36:37]
	v_fma_f64 v[12:13], v[101:102], s[2:3], -v[16:17]
	v_fma_f64 v[16:17], v[101:102], s[2:3], v[16:17]
	v_fma_f64 v[14:15], v[103:104], s[2:3], v[18:19]
	v_fma_f64 v[18:19], v[103:104], s[2:3], -v[18:19]
	v_fma_f64 v[20:21], v[101:102], s[0:1], -v[24:25]
	v_fma_f64 v[24:25], v[101:102], s[0:1], v[24:25]
	v_add_f64 v[12:13], v[12:13], v[32:33]
	v_add_f64 v[16:17], v[16:17], v[26:27]
	v_mul_f64 v[26:27], v[105:106], s[92:93]
	v_mul_f64 v[32:33], v[107:108], s[4:5]
	v_add_f64 v[14:15], v[14:15], v[40:41]
	v_add_f64 v[18:19], v[18:19], v[34:35]
	v_mul_f64 v[34:35], v[105:106], s[4:5]
	v_mul_f64 v[40:41], v[107:108], vcc
	v_add_f64 v[20:21], v[20:21], v[42:43]
	v_mul_f64 v[42:43], v[105:106], vcc
	v_fma_f64 v[22:23], v[103:104], s[0:1], v[26:27]
	v_fma_f64 v[26:27], v[103:104], s[0:1], -v[26:27]
	v_fma_f64 v[28:29], v[101:102], s[8:9], -v[32:33]
	v_add_f64 v[24:25], v[24:25], v[38:39]
	v_fma_f64 v[30:31], v[103:104], s[8:9], v[34:35]
	v_fma_f64 v[36:37], v[101:102], s[6:7], -v[40:41]
	v_fma_f64 v[32:33], v[101:102], s[8:9], v[32:33]
	v_fma_f64 v[38:39], v[103:104], s[6:7], v[42:43]
	v_add_f64 v[22:23], v[22:23], v[48:49]
	v_mul_f64 v[48:49], v[107:108], s[12:13]
	v_add_f64 v[26:27], v[26:27], v[44:45]
	v_add_f64 v[28:29], v[28:29], v[50:51]
	v_mul_f64 v[50:51], v[105:106], s[12:13]
	v_add_f64 v[30:31], v[30:31], v[56:57]
	v_fma_f64 v[34:35], v[103:104], s[8:9], -v[34:35]
	v_add_f64 v[36:37], v[36:37], v[58:59]
	v_fma_f64 v[40:41], v[101:102], s[6:7], v[40:41]
	v_fma_f64 v[44:45], v[101:102], s[94:95], -v[48:49]
	v_mul_f64 v[56:57], v[107:108], s[86:87]
	v_mul_f64 v[58:59], v[105:106], s[86:87]
	v_add_f64 v[38:39], v[38:39], v[66:67]
	v_fma_f64 v[42:43], v[103:104], s[6:7], -v[42:43]
	v_fma_f64 v[48:49], v[101:102], s[94:95], v[48:49]
	v_mul_f64 v[66:67], v[107:108], s[18:19]
	v_add_f64 v[32:33], v[32:33], v[46:47]
	v_add_f64 v[44:45], v[44:45], v[68:69]
	v_mul_f64 v[68:69], v[105:106], s[18:19]
	v_fma_f64 v[46:47], v[103:104], s[94:95], v[50:51]
	v_add_f64 v[34:35], v[34:35], v[52:53]
	v_add_f64 v[40:41], v[40:41], v[54:55]
	v_fma_f64 v[52:53], v[101:102], s[10:11], -v[56:57]
	v_fma_f64 v[54:55], v[103:104], s[10:11], v[58:59]
	v_add_f64 v[42:43], v[42:43], v[60:61]
	v_add_f64 v[48:49], v[48:49], v[62:63]
	v_fma_f64 v[50:51], v[103:104], s[94:95], -v[50:51]
	v_fma_f64 v[56:57], v[101:102], s[10:11], v[56:57]
	v_fma_f64 v[58:59], v[103:104], s[10:11], -v[58:59]
	v_fma_f64 v[60:61], v[101:102], s[90:91], -v[66:67]
	v_fma_f64 v[62:63], v[103:104], s[90:91], v[68:69]
	v_fma_f64 v[66:67], v[101:102], s[90:91], v[66:67]
	v_fma_f64 v[68:69], v[103:104], s[90:91], -v[68:69]
	v_add_f64 v[46:47], v[46:47], v[74:75]
	v_add_f64 v[52:53], v[52:53], v[76:77]
	;; [unrolled: 1-line block ×10, first 2 shown]
	ds_write_b128 v78, v[0:3]
	ds_write_b128 v78, v[4:7] offset:16
	ds_write_b128 v78, v[12:15] offset:32
	;; [unrolled: 1-line block ×16, first 2 shown]
	s_waitcnt lgkmcnt(0)
	s_barrier
	ds_read_b128 v[0:3], v78
	ds_read_b128 v[4:7], v78 offset:16
	ds_read_b128 v[8:11], v78 offset:32
	;; [unrolled: 1-line block ×3, first 2 shown]
	s_waitcnt lgkmcnt(3)
	v_mul_f64 v[16:17], v[2:3], s[74:75]
	v_fma_f64 v[16:17], v[0:1], s[72:73], -v[16:17]
	v_mul_f64 v[0:1], v[0:1], s[74:75]
	v_fma_f64 v[18:19], v[2:3], s[72:73], v[0:1]
	s_waitcnt lgkmcnt(2)
	v_mul_f64 v[0:1], v[6:7], s[78:79]
	v_mul_f64 v[2:3], v[4:5], s[78:79]
	ds_write_b128 v78, v[16:19]
	v_fma_f64 v[0:1], v[4:5], s[76:77], -v[0:1]
	v_fma_f64 v[2:3], v[6:7], s[76:77], v[2:3]
	ds_write_b128 v78, v[0:3] offset:16
	s_waitcnt lgkmcnt(3)
	v_mul_f64 v[0:1], v[10:11], s[82:83]
	v_mul_f64 v[2:3], v[8:9], s[82:83]
	v_fma_f64 v[0:1], v[8:9], s[80:81], -v[0:1]
	v_fma_f64 v[2:3], v[10:11], s[80:81], v[2:3]
	s_load_dwordx16 s[72:87], s[26:27], 0x140
	ds_write_b128 v78, v[0:3] offset:32
	s_waitcnt lgkmcnt(0)
	v_mul_f64 v[0:1], v[14:15], s[74:75]
	v_mul_f64 v[2:3], v[12:13], s[74:75]
	v_fma_f64 v[0:1], v[12:13], s[72:73], -v[0:1]
	v_fma_f64 v[2:3], v[14:15], s[72:73], v[2:3]
	ds_write_b128 v78, v[0:3] offset:48
	ds_read_b128 v[0:3], v78 offset:64
	s_waitcnt lgkmcnt(0)
	v_mul_f64 v[4:5], v[2:3], s[78:79]
	v_fma_f64 v[4:5], v[0:1], s[76:77], -v[4:5]
	v_mul_f64 v[0:1], v[0:1], s[78:79]
	v_fma_f64 v[6:7], v[2:3], s[76:77], v[0:1]
	ds_read_b128 v[0:3], v78 offset:80
	ds_write_b128 v78, v[4:7] offset:64
	s_waitcnt lgkmcnt(1)
	v_mul_f64 v[4:5], v[2:3], s[82:83]
	v_fma_f64 v[4:5], v[0:1], s[80:81], -v[4:5]
	v_mul_f64 v[0:1], v[0:1], s[82:83]
	v_fma_f64 v[6:7], v[2:3], s[80:81], v[0:1]
	ds_read_b128 v[0:3], v78 offset:96
	ds_write_b128 v78, v[4:7] offset:80
	s_waitcnt lgkmcnt(1)
	v_mul_f64 v[4:5], v[2:3], s[86:87]
	v_fma_f64 v[4:5], v[0:1], s[84:85], -v[4:5]
	v_mul_f64 v[0:1], v[0:1], s[86:87]
	v_fma_f64 v[6:7], v[2:3], s[84:85], v[0:1]
	ds_read_b128 v[0:3], v78 offset:112
	s_load_dwordx16 s[72:87], s[26:27], 0x180
	ds_write_b128 v78, v[4:7] offset:96
	s_waitcnt lgkmcnt(0)
	v_mul_f64 v[4:5], v[2:3], s[74:75]
	v_fma_f64 v[4:5], v[0:1], s[72:73], -v[4:5]
	v_mul_f64 v[0:1], v[0:1], s[74:75]
	v_fma_f64 v[6:7], v[2:3], s[72:73], v[0:1]
	ds_read_b128 v[0:3], v78 offset:128
	ds_write_b128 v78, v[4:7] offset:112
	s_waitcnt lgkmcnt(1)
	v_mul_f64 v[4:5], v[2:3], s[78:79]
	v_fma_f64 v[4:5], v[0:1], s[76:77], -v[4:5]
	v_mul_f64 v[0:1], v[0:1], s[78:79]
	v_fma_f64 v[6:7], v[2:3], s[76:77], v[0:1]
	ds_read_b128 v[0:3], v78 offset:144
	;; [unrolled: 7-line block ×4, first 2 shown]
	s_load_dwordx16 s[72:87], s[26:27], 0x1c0
	ds_write_b128 v78, v[4:7] offset:160
	s_waitcnt lgkmcnt(0)
	v_mul_f64 v[4:5], v[2:3], s[74:75]
	v_fma_f64 v[4:5], v[0:1], s[72:73], -v[4:5]
	v_mul_f64 v[0:1], v[0:1], s[74:75]
	v_fma_f64 v[6:7], v[2:3], s[72:73], v[0:1]
	ds_read_b128 v[0:3], v78 offset:192
	ds_write_b128 v78, v[4:7] offset:176
	s_waitcnt lgkmcnt(1)
	v_mul_f64 v[4:5], v[2:3], s[78:79]
	v_fma_f64 v[4:5], v[0:1], s[76:77], -v[4:5]
	v_mul_f64 v[0:1], v[0:1], s[78:79]
	v_fma_f64 v[6:7], v[2:3], s[76:77], v[0:1]
	ds_read_b128 v[0:3], v78 offset:208
	s_load_dwordx8 s[72:79], s[26:27], 0x200
	s_mov_b32 s26, 0x5d8e7cdc
	s_mov_b32 s27, 0xbfd71e95
	ds_write_b128 v78, v[4:7] offset:192
	s_waitcnt lgkmcnt(0)
	v_mul_f64 v[4:5], v[2:3], s[82:83]
	v_fma_f64 v[4:5], v[0:1], s[80:81], -v[4:5]
	v_mul_f64 v[0:1], v[0:1], s[82:83]
	v_fma_f64 v[6:7], v[2:3], s[80:81], v[0:1]
	ds_read_b128 v[0:3], v78 offset:224
	ds_write_b128 v78, v[4:7] offset:208
	s_waitcnt lgkmcnt(1)
	v_mul_f64 v[4:5], v[2:3], s[86:87]
	v_fma_f64 v[4:5], v[0:1], s[84:85], -v[4:5]
	v_mul_f64 v[0:1], v[0:1], s[86:87]
	v_fma_f64 v[6:7], v[2:3], s[84:85], v[0:1]
	ds_read_b128 v[0:3], v78 offset:240
	ds_write_b128 v78, v[4:7] offset:224
	s_waitcnt lgkmcnt(1)
	v_mul_f64 v[4:5], v[2:3], s[74:75]
	v_fma_f64 v[4:5], v[0:1], s[72:73], -v[4:5]
	v_mul_f64 v[0:1], v[0:1], s[74:75]
	s_mov_b32 s74, 0x923c349f
	s_mov_b32 s75, 0xbfeec746
	v_fma_f64 v[6:7], v[2:3], s[72:73], v[0:1]
	ds_read_b128 v[0:3], v78 offset:256
	s_mov_b32 s72, 0x7c9e640b
	s_mov_b32 s73, 0xbfeca52d
	ds_write_b128 v78, v[4:7] offset:240
	s_waitcnt lgkmcnt(1)
	v_mul_f64 v[4:5], v[2:3], s[78:79]
	v_fma_f64 v[4:5], v[0:1], s[76:77], -v[4:5]
	v_mul_f64 v[0:1], v[0:1], s[78:79]
	v_fma_f64 v[6:7], v[2:3], s[76:77], v[0:1]
	s_mov_b32 s76, 0x5d8e7cdc
	s_mov_b32 s77, 0xbfd71e95
	ds_write_b128 v78, v[4:7] offset:256
	s_waitcnt lgkmcnt(0)
	s_barrier
	ds_read_b128 v[60:63], v78
	ds_read_b128 v[66:69], v78 offset:16
	ds_read_b128 v[52:55], v78 offset:32
	;; [unrolled: 1-line block ×16, first 2 shown]
	s_waitcnt lgkmcnt(14)
	v_add_f64 v[0:1], v[60:61], v[66:67]
	v_add_f64 v[2:3], v[62:63], v[68:69]
	s_waitcnt lgkmcnt(0)
	v_add_f64 v[76:77], v[68:69], v[72:73]
	v_add_f64 v[74:75], v[66:67], v[70:71]
	v_add_f64 v[66:67], v[66:67], -v[70:71]
	v_add_f64 v[68:69], v[68:69], -v[72:73]
	v_add_f64 v[0:1], v[0:1], v[52:53]
	v_add_f64 v[2:3], v[2:3], v[54:55]
	v_mul_f64 v[89:90], v[76:77], s[2:3]
	v_mul_f64 v[105:106], v[76:77], s[94:95]
	;; [unrolled: 1-line block ×4, first 2 shown]
	v_add_f64 v[0:1], v[0:1], v[44:45]
	v_add_f64 v[2:3], v[2:3], v[46:47]
	v_mul_f64 v[117:118], v[68:69], s[74:75]
	v_mul_f64 v[125:126], v[68:69], vcc
	v_fma_f64 v[91:92], v[66:67], s[16:17], v[89:90]
	v_fma_f64 v[89:90], v[66:67], s[26:27], v[89:90]
	;; [unrolled: 1-line block ×3, first 2 shown]
	v_mul_f64 v[133:134], v[68:69], s[92:93]
	v_add_f64 v[0:1], v[0:1], v[36:37]
	v_add_f64 v[2:3], v[2:3], v[38:39]
	v_fma_f64 v[95:96], v[74:75], s[8:9], v[93:94]
	v_fma_f64 v[93:94], v[74:75], s[8:9], -v[93:94]
	v_mul_f64 v[113:114], v[76:77], s[90:91]
	v_fma_f64 v[119:120], v[74:75], s[10:11], v[117:118]
	v_mul_f64 v[121:122], v[76:77], s[10:11]
	v_fma_f64 v[117:118], v[74:75], s[10:11], -v[117:118]
	v_add_f64 v[0:1], v[0:1], v[28:29]
	v_add_f64 v[2:3], v[2:3], v[30:31]
	v_fma_f64 v[127:128], v[74:75], s[6:7], v[125:126]
	v_mul_f64 v[129:130], v[76:77], s[6:7]
	v_fma_f64 v[125:126], v[74:75], s[6:7], -v[125:126]
	v_fma_f64 v[135:136], v[74:75], s[0:1], v[133:134]
	v_mul_f64 v[137:138], v[76:77], s[0:1]
	v_fma_f64 v[133:134], v[74:75], s[0:1], -v[133:134]
	v_add_f64 v[0:1], v[0:1], v[20:21]
	v_add_f64 v[2:3], v[2:3], v[22:23]
	v_mul_f64 v[76:77], v[76:77], s[22:23]
	v_add_f64 v[95:96], v[60:61], v[95:96]
	v_fma_f64 v[99:100], v[66:67], s[4:5], v[97:98]
	v_add_f64 v[93:94], v[60:61], v[93:94]
	v_fma_f64 v[97:98], v[66:67], s[30:31], v[97:98]
	v_fma_f64 v[115:116], v[66:67], s[18:19], v[113:114]
	v_add_f64 v[0:1], v[0:1], v[12:13]
	v_add_f64 v[2:3], v[2:3], v[14:15]
	;; [unrolled: 1-line block ×3, first 2 shown]
	v_fma_f64 v[123:124], v[66:67], s[14:15], v[121:122]
	v_add_f64 v[117:118], v[60:61], v[117:118]
	v_fma_f64 v[121:122], v[66:67], s[74:75], v[121:122]
	v_add_f64 v[127:128], v[60:61], v[127:128]
	;; [unrolled: 2-line block ×3, first 2 shown]
	v_add_f64 v[2:3], v[2:3], v[6:7]
	v_add_f64 v[125:126], v[60:61], v[125:126]
	v_fma_f64 v[129:130], v[66:67], vcc, v[129:130]
	v_add_f64 v[135:136], v[60:61], v[135:136]
	v_fma_f64 v[139:140], v[66:67], s[34:35], v[137:138]
	v_add_f64 v[133:134], v[60:61], v[133:134]
	v_fma_f64 v[137:138], v[66:67], s[92:93], v[137:138]
	v_add_f64 v[0:1], v[0:1], v[8:9]
	v_add_f64 v[2:3], v[2:3], v[10:11]
	v_fma_f64 v[143:144], v[66:67], s[28:29], v[76:77]
	v_add_f64 v[91:92], v[62:63], v[91:92]
	v_add_f64 v[89:90], v[62:63], v[89:90]
	;; [unrolled: 1-line block ×26, first 2 shown]
	v_mul_f64 v[70:71], v[68:69], s[26:27]
	s_mov_b32 s26, 0x7c9e640b
	s_mov_b32 s27, 0xbfeca52d
	v_mul_f64 v[101:102], v[68:69], s[26:27]
	v_fma_f64 v[105:106], v[66:67], s[26:27], v[105:106]
	s_mov_b32 s26, 0xeb564b22
	s_mov_b32 s27, 0xbfefdd0d
	v_mul_f64 v[109:110], v[68:69], s[26:27]
	v_mul_f64 v[68:69], v[68:69], s[20:21]
	v_add_f64 v[2:3], v[2:3], v[72:73]
	v_fma_f64 v[72:73], v[74:75], s[2:3], v[70:71]
	v_fma_f64 v[70:71], v[74:75], s[2:3], -v[70:71]
	v_fma_f64 v[103:104], v[74:75], s[94:95], v[101:102]
	v_fma_f64 v[101:102], v[74:75], s[94:95], -v[101:102]
	v_fma_f64 v[113:114], v[66:67], s[26:27], v[113:114]
	v_fma_f64 v[111:112], v[74:75], s[90:91], v[109:110]
	v_fma_f64 v[109:110], v[74:75], s[90:91], -v[109:110]
	v_fma_f64 v[141:142], v[74:75], s[22:23], v[68:69]
	v_fma_f64 v[68:69], v[74:75], s[22:23], -v[68:69]
	v_add_f64 v[72:73], v[60:61], v[72:73]
	v_add_f64 v[70:71], v[60:61], v[70:71]
	;; [unrolled: 1-line block ×8, first 2 shown]
	v_fma_f64 v[66:67], v[66:67], s[20:21], v[76:77]
	v_add_f64 v[68:69], v[54:55], v[58:59]
	v_add_f64 v[54:55], v[54:55], -v[58:59]
	v_add_f64 v[105:106], v[62:63], v[105:106]
	v_add_f64 v[113:114], v[62:63], v[113:114]
	;; [unrolled: 1-line block ×4, first 2 shown]
	v_add_f64 v[52:53], v[52:53], -v[56:57]
	v_mul_f64 v[56:57], v[54:55], s[30:31]
	v_fma_f64 v[58:59], v[66:67], s[8:9], v[56:57]
	v_fma_f64 v[56:57], v[66:67], s[8:9], -v[56:57]
	v_add_f64 v[58:59], v[58:59], v[72:73]
	v_mul_f64 v[72:73], v[68:69], s[8:9]
	v_add_f64 v[56:57], v[56:57], v[70:71]
	v_fma_f64 v[74:75], v[52:53], s[4:5], v[72:73]
	v_fma_f64 v[70:71], v[52:53], s[30:31], v[72:73]
	v_mul_f64 v[72:73], v[54:55], s[26:27]
	v_add_f64 v[74:75], v[74:75], v[91:92]
	v_add_f64 v[70:71], v[70:71], v[89:90]
	v_fma_f64 v[76:77], v[66:67], s[90:91], v[72:73]
	v_mul_f64 v[89:90], v[68:69], s[90:91]
	v_fma_f64 v[72:73], v[66:67], s[90:91], -v[72:73]
	v_add_f64 v[76:77], v[76:77], v[95:96]
	v_fma_f64 v[91:92], v[52:53], s[18:19], v[89:90]
	v_add_f64 v[72:73], v[72:73], v[93:94]
	v_fma_f64 v[89:90], v[52:53], s[26:27], v[89:90]
	v_mul_f64 v[93:94], v[54:55], vcc
	v_add_f64 v[91:92], v[91:92], v[99:100]
	v_add_f64 v[89:90], v[89:90], v[97:98]
	v_fma_f64 v[95:96], v[66:67], s[6:7], v[93:94]
	v_mul_f64 v[97:98], v[68:69], s[6:7]
	v_fma_f64 v[93:94], v[66:67], s[6:7], -v[93:94]
	v_add_f64 v[95:96], v[95:96], v[103:104]
	v_fma_f64 v[99:100], v[52:53], s[24:25], v[97:98]
	v_add_f64 v[93:94], v[93:94], v[101:102]
	v_fma_f64 v[97:98], v[52:53], vcc, v[97:98]
	v_mul_f64 v[101:102], v[54:55], s[20:21]
	v_add_f64 v[99:100], v[99:100], v[107:108]
	v_add_f64 v[97:98], v[97:98], v[105:106]
	v_fma_f64 v[103:104], v[66:67], s[22:23], v[101:102]
	v_mul_f64 v[105:106], v[68:69], s[22:23]
	v_fma_f64 v[101:102], v[66:67], s[22:23], -v[101:102]
	v_add_f64 v[103:104], v[103:104], v[111:112]
	v_fma_f64 v[107:108], v[52:53], s[28:29], v[105:106]
	v_add_f64 v[101:102], v[101:102], v[109:110]
	v_fma_f64 v[105:106], v[52:53], s[20:21], v[105:106]
	v_mul_f64 v[109:110], v[54:55], s[34:35]
	v_add_f64 v[107:108], v[107:108], v[115:116]
	v_add_f64 v[105:106], v[105:106], v[113:114]
	v_fma_f64 v[111:112], v[66:67], s[0:1], v[109:110]
	v_mul_f64 v[113:114], v[68:69], s[0:1]
	v_fma_f64 v[109:110], v[66:67], s[0:1], -v[109:110]
	v_add_f64 v[111:112], v[111:112], v[119:120]
	v_fma_f64 v[115:116], v[52:53], s[92:93], v[113:114]
	v_add_f64 v[109:110], v[109:110], v[117:118]
	v_fma_f64 v[113:114], v[52:53], s[34:35], v[113:114]
	v_mul_f64 v[117:118], v[54:55], s[14:15]
	v_add_f64 v[115:116], v[115:116], v[123:124]
	v_add_f64 v[113:114], v[113:114], v[121:122]
	v_fma_f64 v[119:120], v[66:67], s[10:11], v[117:118]
	v_mul_f64 v[121:122], v[68:69], s[10:11]
	v_fma_f64 v[117:118], v[66:67], s[10:11], -v[117:118]
	v_add_f64 v[119:120], v[119:120], v[127:128]
	v_fma_f64 v[123:124], v[52:53], s[74:75], v[121:122]
	v_add_f64 v[117:118], v[117:118], v[125:126]
	v_fma_f64 v[121:122], v[52:53], s[14:15], v[121:122]
	v_mul_f64 v[125:126], v[54:55], s[12:13]
	v_mul_f64 v[54:55], v[54:55], s[16:17]
	v_add_f64 v[123:124], v[123:124], v[131:132]
	v_add_f64 v[121:122], v[121:122], v[129:130]
	v_fma_f64 v[127:128], v[66:67], s[94:95], v[125:126]
	v_mul_f64 v[129:130], v[68:69], s[94:95]
	v_mul_f64 v[68:69], v[68:69], s[2:3]
	v_fma_f64 v[125:126], v[66:67], s[94:95], -v[125:126]
	v_add_f64 v[127:128], v[127:128], v[135:136]
	v_fma_f64 v[131:132], v[52:53], s[72:73], v[129:130]
	v_fma_f64 v[129:130], v[52:53], s[12:13], v[129:130]
	;; [unrolled: 1-line block ×4, first 2 shown]
	v_add_f64 v[125:126], v[125:126], v[133:134]
	v_fma_f64 v[133:134], v[66:67], s[2:3], v[54:55]
	v_fma_f64 v[54:55], v[66:67], s[2:3], -v[54:55]
	v_add_f64 v[131:132], v[131:132], v[139:140]
	v_add_f64 v[129:130], v[129:130], v[137:138]
	;; [unrolled: 1-line block ×5, first 2 shown]
	v_add_f64 v[46:47], v[46:47], -v[50:51]
	v_add_f64 v[54:55], v[54:55], v[60:61]
	v_add_f64 v[60:61], v[44:45], v[48:49]
	v_add_f64 v[44:45], v[44:45], -v[48:49]
	v_add_f64 v[133:134], v[133:134], v[141:142]
	v_mul_f64 v[48:49], v[46:47], s[72:73]
	v_fma_f64 v[50:51], v[60:61], s[94:95], v[48:49]
	v_fma_f64 v[48:49], v[60:61], s[94:95], -v[48:49]
	v_add_f64 v[50:51], v[50:51], v[58:59]
	v_mul_f64 v[58:59], v[62:63], s[94:95]
	v_add_f64 v[48:49], v[48:49], v[56:57]
	v_fma_f64 v[66:67], v[44:45], s[12:13], v[58:59]
	v_fma_f64 v[56:57], v[44:45], s[72:73], v[58:59]
	v_mul_f64 v[58:59], v[46:47], vcc
	v_add_f64 v[66:67], v[66:67], v[74:75]
	v_add_f64 v[56:57], v[56:57], v[70:71]
	v_fma_f64 v[68:69], v[60:61], s[6:7], v[58:59]
	v_fma_f64 v[58:59], v[60:61], s[6:7], -v[58:59]
	v_mul_f64 v[70:71], v[62:63], s[6:7]
	v_add_f64 v[68:69], v[68:69], v[76:77]
	v_add_f64 v[58:59], v[58:59], v[72:73]
	v_mul_f64 v[72:73], v[46:47], s[28:29]
	v_fma_f64 v[74:75], v[44:45], s[24:25], v[70:71]
	v_fma_f64 v[70:71], v[44:45], vcc, v[70:71]
	v_fma_f64 v[76:77], v[60:61], s[22:23], v[72:73]
	v_fma_f64 v[72:73], v[60:61], s[22:23], -v[72:73]
	v_add_f64 v[70:71], v[70:71], v[89:90]
	v_mul_f64 v[89:90], v[62:63], s[22:23]
	v_add_f64 v[74:75], v[74:75], v[91:92]
	v_add_f64 v[76:77], v[76:77], v[95:96]
	v_add_f64 v[72:73], v[72:73], v[93:94]
	v_mul_f64 v[93:94], v[46:47], s[14:15]
	v_fma_f64 v[91:92], v[44:45], s[20:21], v[89:90]
	v_fma_f64 v[89:90], v[44:45], s[28:29], v[89:90]
	v_fma_f64 v[95:96], v[60:61], s[10:11], v[93:94]
	v_fma_f64 v[93:94], v[60:61], s[10:11], -v[93:94]
	v_add_f64 v[89:90], v[89:90], v[97:98]
	v_mul_f64 v[97:98], v[62:63], s[10:11]
	v_add_f64 v[91:92], v[91:92], v[99:100]
	v_add_f64 v[95:96], v[95:96], v[103:104]
	v_add_f64 v[93:94], v[93:94], v[101:102]
	v_mul_f64 v[101:102], v[46:47], s[4:5]
	v_fma_f64 v[99:100], v[44:45], s[74:75], v[97:98]
	v_fma_f64 v[97:98], v[44:45], s[14:15], v[97:98]
	;; [unrolled: 10-line block ×4, first 2 shown]
	v_mul_f64 v[46:47], v[46:47], s[92:93]
	v_fma_f64 v[119:120], v[60:61], s[90:91], v[117:118]
	v_fma_f64 v[117:118], v[60:61], s[90:91], -v[117:118]
	v_add_f64 v[113:114], v[113:114], v[121:122]
	v_mul_f64 v[121:122], v[62:63], s[90:91]
	v_mul_f64 v[62:63], v[62:63], s[0:1]
	v_add_f64 v[115:116], v[115:116], v[123:124]
	v_add_f64 v[119:120], v[119:120], v[127:128]
	;; [unrolled: 1-line block ×3, first 2 shown]
	v_fma_f64 v[125:126], v[60:61], s[0:1], v[46:47]
	v_fma_f64 v[46:47], v[60:61], s[0:1], -v[46:47]
	v_fma_f64 v[123:124], v[44:45], s[18:19], v[121:122]
	v_fma_f64 v[121:122], v[44:45], s[26:27], v[121:122]
	;; [unrolled: 1-line block ×4, first 2 shown]
	v_add_f64 v[125:126], v[125:126], v[133:134]
	v_add_f64 v[46:47], v[46:47], v[54:55]
	v_add_f64 v[54:55], v[38:39], v[42:43]
	v_add_f64 v[38:39], v[38:39], -v[42:43]
	v_add_f64 v[121:122], v[121:122], v[129:130]
	v_add_f64 v[44:45], v[44:45], v[52:53]
	;; [unrolled: 1-line block ×3, first 2 shown]
	v_add_f64 v[36:37], v[36:37], -v[40:41]
	v_add_f64 v[127:128], v[127:128], v[135:136]
	v_add_f64 v[123:124], v[123:124], v[131:132]
	v_mul_f64 v[62:63], v[54:55], s[22:23]
	v_mul_f64 v[40:41], v[38:39], s[26:27]
	v_fma_f64 v[42:43], v[52:53], s[90:91], v[40:41]
	v_fma_f64 v[40:41], v[52:53], s[90:91], -v[40:41]
	v_add_f64 v[42:43], v[42:43], v[50:51]
	v_mul_f64 v[50:51], v[54:55], s[90:91]
	v_add_f64 v[40:41], v[40:41], v[48:49]
	v_fma_f64 v[60:61], v[36:37], s[18:19], v[50:51]
	v_fma_f64 v[48:49], v[36:37], s[26:27], v[50:51]
	v_mul_f64 v[50:51], v[38:39], s[20:21]
	v_add_f64 v[60:61], v[60:61], v[66:67]
	v_add_f64 v[48:49], v[48:49], v[56:57]
	v_fma_f64 v[56:57], v[52:53], s[22:23], v[50:51]
	v_fma_f64 v[50:51], v[52:53], s[22:23], -v[50:51]
	v_fma_f64 v[66:67], v[36:37], s[28:29], v[62:63]
	v_add_f64 v[56:57], v[56:57], v[68:69]
	v_add_f64 v[50:51], v[50:51], v[58:59]
	v_fma_f64 v[58:59], v[36:37], s[20:21], v[62:63]
	v_mul_f64 v[62:63], v[38:39], s[14:15]
	v_add_f64 v[66:67], v[66:67], v[74:75]
	v_add_f64 v[58:59], v[58:59], v[70:71]
	v_fma_f64 v[68:69], v[52:53], s[10:11], v[62:63]
	v_fma_f64 v[62:63], v[52:53], s[10:11], -v[62:63]
	v_mul_f64 v[70:71], v[54:55], s[10:11]
	v_add_f64 v[68:69], v[68:69], v[76:77]
	v_add_f64 v[62:63], v[62:63], v[72:73]
	v_mul_f64 v[72:73], v[38:39], s[16:17]
	v_fma_f64 v[74:75], v[36:37], s[74:75], v[70:71]
	v_fma_f64 v[70:71], v[36:37], s[14:15], v[70:71]
	v_fma_f64 v[76:77], v[52:53], s[2:3], v[72:73]
	v_fma_f64 v[72:73], v[52:53], s[2:3], -v[72:73]
	v_add_f64 v[70:71], v[70:71], v[89:90]
	v_mul_f64 v[89:90], v[54:55], s[2:3]
	v_add_f64 v[74:75], v[74:75], v[91:92]
	v_add_f64 v[76:77], v[76:77], v[95:96]
	v_add_f64 v[72:73], v[72:73], v[93:94]
	v_mul_f64 v[93:94], v[38:39], s[72:73]
	v_fma_f64 v[91:92], v[36:37], s[76:77], v[89:90]
	v_fma_f64 v[89:90], v[36:37], s[16:17], v[89:90]
	v_fma_f64 v[95:96], v[52:53], s[94:95], v[93:94]
	v_fma_f64 v[93:94], v[52:53], s[94:95], -v[93:94]
	v_add_f64 v[89:90], v[89:90], v[97:98]
	v_mul_f64 v[97:98], v[54:55], s[94:95]
	v_add_f64 v[91:92], v[91:92], v[99:100]
	;; [unrolled: 10-line block ×3, first 2 shown]
	v_add_f64 v[103:104], v[103:104], v[111:112]
	v_add_f64 v[101:102], v[101:102], v[109:110]
	v_mul_f64 v[109:110], v[38:39], s[24:25]
	v_fma_f64 v[107:108], v[36:37], s[34:35], v[105:106]
	v_fma_f64 v[105:106], v[36:37], s[92:93], v[105:106]
	v_mul_f64 v[38:39], v[38:39], s[4:5]
	v_fma_f64 v[111:112], v[52:53], s[6:7], v[109:110]
	v_fma_f64 v[109:110], v[52:53], s[6:7], -v[109:110]
	v_add_f64 v[105:106], v[105:106], v[113:114]
	v_mul_f64 v[113:114], v[54:55], s[6:7]
	v_mul_f64 v[54:55], v[54:55], s[8:9]
	v_add_f64 v[107:108], v[107:108], v[115:116]
	v_add_f64 v[111:112], v[111:112], v[119:120]
	;; [unrolled: 1-line block ×3, first 2 shown]
	v_fma_f64 v[117:118], v[52:53], s[8:9], v[38:39]
	v_fma_f64 v[38:39], v[52:53], s[8:9], -v[38:39]
	v_fma_f64 v[115:116], v[36:37], vcc, v[113:114]
	v_fma_f64 v[113:114], v[36:37], s[24:25], v[113:114]
	v_fma_f64 v[119:120], v[36:37], s[30:31], v[54:55]
	v_fma_f64 v[36:37], v[36:37], s[4:5], v[54:55]
	v_add_f64 v[117:118], v[117:118], v[125:126]
	v_add_f64 v[38:39], v[38:39], v[46:47]
	;; [unrolled: 1-line block ×3, first 2 shown]
	v_add_f64 v[30:31], v[30:31], -v[34:35]
	v_add_f64 v[113:114], v[113:114], v[121:122]
	v_add_f64 v[36:37], v[36:37], v[44:45]
	;; [unrolled: 1-line block ×3, first 2 shown]
	v_add_f64 v[28:29], v[28:29], -v[32:33]
	v_add_f64 v[119:120], v[119:120], v[127:128]
	v_add_f64 v[115:116], v[115:116], v[123:124]
	v_mul_f64 v[54:55], v[46:47], s[0:1]
	v_mul_f64 v[32:33], v[30:31], s[74:75]
	v_fma_f64 v[34:35], v[44:45], s[10:11], v[32:33]
	v_fma_f64 v[32:33], v[44:45], s[10:11], -v[32:33]
	v_add_f64 v[34:35], v[34:35], v[42:43]
	v_mul_f64 v[42:43], v[46:47], s[10:11]
	v_add_f64 v[32:33], v[32:33], v[40:41]
	v_fma_f64 v[52:53], v[28:29], s[14:15], v[42:43]
	v_fma_f64 v[40:41], v[28:29], s[74:75], v[42:43]
	v_mul_f64 v[42:43], v[30:31], s[34:35]
	v_add_f64 v[52:53], v[52:53], v[60:61]
	v_add_f64 v[40:41], v[40:41], v[48:49]
	v_fma_f64 v[48:49], v[44:45], s[0:1], v[42:43]
	v_fma_f64 v[42:43], v[44:45], s[0:1], -v[42:43]
	v_mul_f64 v[60:61], v[46:47], s[8:9]
	v_add_f64 v[48:49], v[48:49], v[56:57]
	v_fma_f64 v[56:57], v[28:29], s[92:93], v[54:55]
	v_add_f64 v[42:43], v[42:43], v[50:51]
	v_fma_f64 v[50:51], v[28:29], s[34:35], v[54:55]
	v_mul_f64 v[54:55], v[30:31], s[4:5]
	v_add_f64 v[56:57], v[56:57], v[66:67]
	v_fma_f64 v[66:67], v[28:29], s[30:31], v[60:61]
	v_add_f64 v[50:51], v[50:51], v[58:59]
	v_fma_f64 v[58:59], v[44:45], s[8:9], v[54:55]
	v_fma_f64 v[54:55], v[44:45], s[8:9], -v[54:55]
	v_fma_f64 v[60:61], v[28:29], s[4:5], v[60:61]
	v_add_f64 v[66:67], v[66:67], v[74:75]
	v_add_f64 v[58:59], v[58:59], v[68:69]
	;; [unrolled: 1-line block ×3, first 2 shown]
	v_mul_f64 v[62:63], v[30:31], s[72:73]
	v_add_f64 v[60:61], v[60:61], v[70:71]
	v_mul_f64 v[70:71], v[46:47], s[94:95]
	v_fma_f64 v[68:69], v[44:45], s[94:95], v[62:63]
	v_fma_f64 v[62:63], v[44:45], s[94:95], -v[62:63]
	v_fma_f64 v[74:75], v[28:29], s[12:13], v[70:71]
	v_fma_f64 v[70:71], v[28:29], s[72:73], v[70:71]
	v_add_f64 v[68:69], v[68:69], v[76:77]
	v_add_f64 v[62:63], v[62:63], v[72:73]
	v_mul_f64 v[72:73], v[30:31], s[20:21]
	v_add_f64 v[70:71], v[70:71], v[89:90]
	v_mul_f64 v[89:90], v[46:47], s[22:23]
	v_add_f64 v[74:75], v[74:75], v[91:92]
	v_fma_f64 v[76:77], v[44:45], s[22:23], v[72:73]
	v_fma_f64 v[72:73], v[44:45], s[22:23], -v[72:73]
	v_fma_f64 v[91:92], v[28:29], s[28:29], v[89:90]
	v_fma_f64 v[89:90], v[28:29], s[20:21], v[89:90]
	v_add_f64 v[76:77], v[76:77], v[95:96]
	v_add_f64 v[72:73], v[72:73], v[93:94]
	v_mul_f64 v[93:94], v[30:31], s[18:19]
	v_add_f64 v[89:90], v[89:90], v[97:98]
	v_mul_f64 v[97:98], v[46:47], s[90:91]
	v_add_f64 v[91:92], v[91:92], v[99:100]
	v_fma_f64 v[95:96], v[44:45], s[90:91], v[93:94]
	v_fma_f64 v[93:94], v[44:45], s[90:91], -v[93:94]
	v_fma_f64 v[99:100], v[28:29], s[26:27], v[97:98]
	v_fma_f64 v[97:98], v[28:29], s[18:19], v[97:98]
	v_add_f64 v[95:96], v[95:96], v[103:104]
	v_add_f64 v[93:94], v[93:94], v[101:102]
	v_mul_f64 v[101:102], v[30:31], s[76:77]
	v_mul_f64 v[30:31], v[30:31], vcc
	v_add_f64 v[97:98], v[97:98], v[105:106]
	v_mul_f64 v[105:106], v[46:47], s[2:3]
	v_mul_f64 v[46:47], v[46:47], s[6:7]
	v_add_f64 v[99:100], v[99:100], v[107:108]
	v_fma_f64 v[103:104], v[44:45], s[2:3], v[101:102]
	v_fma_f64 v[101:102], v[44:45], s[2:3], -v[101:102]
	v_fma_f64 v[107:108], v[28:29], s[16:17], v[105:106]
	v_fma_f64 v[105:106], v[28:29], s[76:77], v[105:106]
	v_add_f64 v[103:104], v[103:104], v[111:112]
	v_add_f64 v[101:102], v[101:102], v[109:110]
	v_fma_f64 v[109:110], v[44:45], s[6:7], v[30:31]
	v_fma_f64 v[30:31], v[44:45], s[6:7], -v[30:31]
	v_fma_f64 v[111:112], v[28:29], s[24:25], v[46:47]
	v_fma_f64 v[28:29], v[28:29], vcc, v[46:47]
	v_add_f64 v[105:106], v[105:106], v[113:114]
	v_add_f64 v[113:114], v[14:15], v[18:19]
	v_add_f64 v[14:15], v[14:15], -v[18:19]
	v_add_f64 v[107:108], v[107:108], v[115:116]
	v_add_f64 v[109:110], v[109:110], v[117:118]
	;; [unrolled: 1-line block ×4, first 2 shown]
	v_add_f64 v[22:23], v[22:23], -v[26:27]
	v_add_f64 v[28:29], v[28:29], v[36:37]
	v_add_f64 v[36:37], v[20:21], v[24:25]
	v_add_f64 v[20:21], v[20:21], -v[24:25]
	v_add_f64 v[111:112], v[111:112], v[119:120]
	v_mul_f64 v[46:47], v[38:39], s[10:11]
	v_mul_f64 v[24:25], v[22:23], vcc
	v_fma_f64 v[26:27], v[36:37], s[6:7], v[24:25]
	v_fma_f64 v[24:25], v[36:37], s[6:7], -v[24:25]
	v_add_f64 v[26:27], v[26:27], v[34:35]
	v_mul_f64 v[34:35], v[38:39], s[6:7]
	v_add_f64 v[24:25], v[24:25], v[32:33]
	v_fma_f64 v[44:45], v[20:21], s[24:25], v[34:35]
	v_fma_f64 v[32:33], v[20:21], vcc, v[34:35]
	v_mul_f64 v[34:35], v[22:23], s[14:15]
	v_add_f64 v[44:45], v[44:45], v[52:53]
	v_add_f64 v[32:33], v[32:33], v[40:41]
	v_fma_f64 v[40:41], v[36:37], s[10:11], v[34:35]
	v_fma_f64 v[34:35], v[36:37], s[10:11], -v[34:35]
	v_mul_f64 v[52:53], v[38:39], s[2:3]
	v_add_f64 v[40:41], v[40:41], v[48:49]
	v_fma_f64 v[48:49], v[20:21], s[74:75], v[46:47]
	v_add_f64 v[34:35], v[34:35], v[42:43]
	v_fma_f64 v[42:43], v[20:21], s[14:15], v[46:47]
	v_mul_f64 v[46:47], v[22:23], s[76:77]
	v_add_f64 v[48:49], v[48:49], v[56:57]
	v_fma_f64 v[56:57], v[20:21], s[16:17], v[52:53]
	v_add_f64 v[42:43], v[42:43], v[50:51]
	v_fma_f64 v[50:51], v[36:37], s[2:3], v[46:47]
	v_fma_f64 v[46:47], v[36:37], s[2:3], -v[46:47]
	v_fma_f64 v[52:53], v[20:21], s[76:77], v[52:53]
	v_add_f64 v[56:57], v[56:57], v[66:67]
	v_add_f64 v[50:51], v[50:51], v[58:59]
	;; [unrolled: 1-line block ×3, first 2 shown]
	v_mul_f64 v[54:55], v[22:23], s[92:93]
	v_add_f64 v[52:53], v[52:53], v[60:61]
	v_mul_f64 v[60:61], v[38:39], s[0:1]
	v_fma_f64 v[58:59], v[36:37], s[0:1], v[54:55]
	v_fma_f64 v[54:55], v[36:37], s[0:1], -v[54:55]
	v_fma_f64 v[66:67], v[20:21], s[34:35], v[60:61]
	v_fma_f64 v[60:61], v[20:21], s[92:93], v[60:61]
	v_add_f64 v[58:59], v[58:59], v[68:69]
	v_add_f64 v[54:55], v[54:55], v[62:63]
	v_mul_f64 v[62:63], v[22:23], s[18:19]
	v_add_f64 v[60:61], v[60:61], v[70:71]
	v_mul_f64 v[70:71], v[38:39], s[90:91]
	v_add_f64 v[66:67], v[66:67], v[74:75]
	v_fma_f64 v[68:69], v[36:37], s[90:91], v[62:63]
	v_fma_f64 v[62:63], v[36:37], s[90:91], -v[62:63]
	v_fma_f64 v[74:75], v[20:21], s[26:27], v[70:71]
	v_fma_f64 v[70:71], v[20:21], s[18:19], v[70:71]
	v_add_f64 v[68:69], v[68:69], v[76:77]
	v_add_f64 v[62:63], v[62:63], v[72:73]
	v_mul_f64 v[72:73], v[22:23], s[30:31]
	v_add_f64 v[70:71], v[70:71], v[89:90]
	v_mul_f64 v[89:90], v[38:39], s[8:9]
	v_add_f64 v[74:75], v[74:75], v[91:92]
	v_fma_f64 v[76:77], v[36:37], s[8:9], v[72:73]
	v_fma_f64 v[72:73], v[36:37], s[8:9], -v[72:73]
	v_fma_f64 v[91:92], v[20:21], s[4:5], v[89:90]
	v_add_f64 v[76:77], v[76:77], v[95:96]
	v_add_f64 v[93:94], v[72:73], v[93:94]
	v_fma_f64 v[72:73], v[20:21], s[30:31], v[89:90]
	v_add_f64 v[91:92], v[91:92], v[99:100]
	v_add_f64 v[89:90], v[72:73], v[97:98]
	v_mul_f64 v[72:73], v[22:23], s[20:21]
	v_mul_f64 v[97:98], v[38:39], s[22:23]
	;; [unrolled: 1-line block ×4, first 2 shown]
	v_fma_f64 v[95:96], v[36:37], s[22:23], v[72:73]
	v_fma_f64 v[72:73], v[36:37], s[22:23], -v[72:73]
	v_fma_f64 v[99:100], v[20:21], s[28:29], v[97:98]
	v_add_f64 v[95:96], v[95:96], v[103:104]
	v_add_f64 v[101:102], v[72:73], v[101:102]
	v_fma_f64 v[72:73], v[20:21], s[20:21], v[97:98]
	v_add_f64 v[99:100], v[99:100], v[107:108]
	v_add_f64 v[97:98], v[72:73], v[105:106]
	v_fma_f64 v[72:73], v[36:37], s[94:95], v[22:23]
	v_fma_f64 v[22:23], v[36:37], s[94:95], -v[22:23]
	v_add_f64 v[103:104], v[72:73], v[109:110]
	v_fma_f64 v[72:73], v[20:21], s[72:73], v[38:39]
	v_fma_f64 v[20:21], v[20:21], s[12:13], v[38:39]
	v_add_f64 v[107:108], v[22:23], v[30:31]
	v_add_f64 v[105:106], v[72:73], v[111:112]
	;; [unrolled: 1-line block ×3, first 2 shown]
	v_add_f64 v[12:13], v[12:13], -v[16:17]
	v_mul_f64 v[16:17], v[14:15], s[92:93]
	v_add_f64 v[109:110], v[20:21], v[28:29]
	v_fma_f64 v[18:19], v[111:112], s[0:1], v[16:17]
	v_fma_f64 v[16:17], v[111:112], s[0:1], -v[16:17]
	v_add_f64 v[115:116], v[18:19], v[26:27]
	v_mul_f64 v[18:19], v[113:114], s[0:1]
	v_add_f64 v[119:120], v[16:17], v[24:25]
	v_mul_f64 v[26:27], v[113:114], s[90:91]
	v_mul_f64 v[24:25], v[14:15], s[26:27]
	v_fma_f64 v[16:17], v[12:13], s[92:93], v[18:19]
	v_fma_f64 v[20:21], v[12:13], s[34:35], v[18:19]
	;; [unrolled: 1-line block ×4, first 2 shown]
	v_add_f64 v[121:122], v[16:17], v[32:33]
	v_mul_f64 v[16:17], v[14:15], s[12:13]
	v_add_f64 v[117:118], v[20:21], v[44:45]
	v_add_f64 v[26:27], v[26:27], v[52:53]
	v_mul_f64 v[32:33], v[14:15], s[24:25]
	v_add_f64 v[22:23], v[22:23], v[56:57]
	v_fma_f64 v[18:19], v[111:112], s[94:95], v[16:17]
	v_fma_f64 v[16:17], v[111:112], s[94:95], -v[16:17]
	v_fma_f64 v[28:29], v[111:112], s[6:7], v[32:33]
	v_fma_f64 v[32:33], v[111:112], s[6:7], -v[32:33]
	v_add_f64 v[123:124], v[18:19], v[40:41]
	v_mul_f64 v[18:19], v[113:114], s[94:95]
	v_mul_f64 v[40:41], v[14:15], s[76:77]
	v_add_f64 v[16:17], v[16:17], v[34:35]
	v_mul_f64 v[34:35], v[113:114], s[6:7]
	v_add_f64 v[28:29], v[28:29], v[58:59]
	v_add_f64 v[32:33], v[32:33], v[54:55]
	v_fma_f64 v[20:21], v[12:13], s[72:73], v[18:19]
	v_fma_f64 v[18:19], v[12:13], s[12:13], v[18:19]
	;; [unrolled: 1-line block ×3, first 2 shown]
	v_fma_f64 v[40:41], v[111:112], s[2:3], -v[40:41]
	v_fma_f64 v[30:31], v[12:13], vcc, v[34:35]
	v_fma_f64 v[34:35], v[12:13], s[24:25], v[34:35]
	v_add_f64 v[125:126], v[20:21], v[48:49]
	v_add_f64 v[18:19], v[18:19], v[42:43]
	v_mul_f64 v[42:43], v[113:114], s[2:3]
	v_add_f64 v[72:73], v[40:41], v[62:63]
	v_add_f64 v[36:37], v[36:37], v[68:69]
	;; [unrolled: 1-line block ×3, first 2 shown]
	v_fma_f64 v[20:21], v[111:112], s[90:91], v[24:25]
	v_fma_f64 v[24:25], v[111:112], s[90:91], -v[24:25]
	v_add_f64 v[30:31], v[30:31], v[66:67]
	v_fma_f64 v[40:41], v[12:13], s[76:77], v[42:43]
	v_fma_f64 v[38:39], v[12:13], s[16:17], v[42:43]
	v_add_f64 v[20:21], v[20:21], v[50:51]
	v_add_f64 v[24:25], v[24:25], v[46:47]
	v_add_f64 v[50:51], v[4:5], -v[8:9]
	v_add_f64 v[70:71], v[40:41], v[70:71]
	v_mul_f64 v[40:41], v[14:15], s[20:21]
	v_add_f64 v[38:39], v[38:39], v[74:75]
	v_add_f64 v[74:75], v[6:7], v[10:11]
	v_fma_f64 v[42:43], v[111:112], s[22:23], v[40:41]
	v_fma_f64 v[40:41], v[111:112], s[22:23], -v[40:41]
	v_add_f64 v[68:69], v[42:43], v[76:77]
	v_mul_f64 v[42:43], v[113:114], s[22:23]
	v_add_f64 v[60:61], v[40:41], v[93:94]
	v_add_f64 v[76:77], v[6:7], -v[10:11]
	v_mul_f64 v[10:11], v[74:75], s[22:23]
	v_fma_f64 v[40:41], v[12:13], s[20:21], v[42:43]
	v_fma_f64 v[44:45], v[12:13], s[28:29], v[42:43]
	;; [unrolled: 1-line block ×4, first 2 shown]
	v_add_f64 v[62:63], v[40:41], v[89:90]
	v_mul_f64 v[40:41], v[14:15], s[4:5]
	v_mul_f64 v[14:15], v[14:15], s[74:75]
	v_add_f64 v[66:67], v[44:45], v[91:92]
	v_mul_f64 v[89:90], v[76:77], s[16:17]
	v_mul_f64 v[91:92], v[74:75], s[2:3]
	v_add_f64 v[6:7], v[6:7], v[117:118]
	v_add_f64 v[10:11], v[10:11], v[121:122]
	v_fma_f64 v[42:43], v[111:112], s[8:9], v[40:41]
	v_fma_f64 v[40:41], v[111:112], s[8:9], -v[40:41]
	v_add_f64 v[52:53], v[42:43], v[95:96]
	v_mul_f64 v[42:43], v[113:114], s[8:9]
	v_add_f64 v[56:57], v[40:41], v[101:102]
	v_fma_f64 v[40:41], v[12:13], s[4:5], v[42:43]
	v_fma_f64 v[44:45], v[12:13], s[30:31], v[42:43]
	v_add_f64 v[58:59], v[40:41], v[97:98]
	v_fma_f64 v[40:41], v[111:112], s[10:11], v[14:15]
	v_add_f64 v[54:55], v[44:45], v[99:100]
	v_add_f64 v[44:45], v[4:5], v[8:9]
	v_fma_f64 v[14:15], v[111:112], s[10:11], -v[14:15]
	v_mul_f64 v[8:9], v[76:77], s[20:21]
	v_add_f64 v[46:47], v[40:41], v[103:104]
	v_mul_f64 v[40:41], v[113:114], s[10:11]
	v_fma_f64 v[4:5], v[44:45], s[22:23], v[8:9]
	v_fma_f64 v[8:9], v[44:45], s[22:23], -v[8:9]
	v_fma_f64 v[42:43], v[12:13], s[14:15], v[40:41]
	v_fma_f64 v[12:13], v[12:13], s[74:75], v[40:41]
	v_add_f64 v[4:5], v[4:5], v[115:116]
	v_add_f64 v[8:9], v[8:9], v[119:120]
	;; [unrolled: 1-line block ×4, first 2 shown]
	v_fma_f64 v[12:13], v[44:45], s[2:3], v[89:90]
	v_fma_f64 v[89:90], v[44:45], s[2:3], -v[89:90]
	v_add_f64 v[42:43], v[14:15], v[107:108]
	v_fma_f64 v[14:15], v[50:51], s[76:77], v[91:92]
	v_readlane_b32 s2, v145, 0
	v_readlane_b32 s3, v145, 1
	v_add_f64 v[12:13], v[12:13], v[123:124]
	v_add_f64 v[16:17], v[89:90], v[16:17]
	v_fma_f64 v[89:90], v[50:51], s[16:17], v[91:92]
	v_add_f64 v[14:15], v[14:15], v[125:126]
	v_add_f64 v[18:19], v[89:90], v[18:19]
	v_mul_f64 v[89:90], v[76:77], s[92:93]
	v_fma_f64 v[91:92], v[44:45], s[0:1], v[89:90]
	v_fma_f64 v[89:90], v[44:45], s[0:1], -v[89:90]
	v_add_f64 v[20:21], v[91:92], v[20:21]
	v_mul_f64 v[91:92], v[74:75], s[0:1]
	v_add_f64 v[24:25], v[89:90], v[24:25]
	s_mov_b32 s0, 0x1e1e1e1e
	s_mov_b32 s1, 0x3fae1e1e
	v_fma_f64 v[89:90], v[50:51], s[92:93], v[91:92]
	v_fma_f64 v[93:94], v[50:51], s[34:35], v[91:92]
	v_add_f64 v[26:27], v[89:90], v[26:27]
	v_mul_f64 v[89:90], v[76:77], s[4:5]
	v_add_f64 v[22:23], v[93:94], v[22:23]
	v_fma_f64 v[91:92], v[44:45], s[8:9], v[89:90]
	v_fma_f64 v[89:90], v[44:45], s[8:9], -v[89:90]
	v_add_f64 v[28:29], v[91:92], v[28:29]
	v_mul_f64 v[91:92], v[74:75], s[8:9]
	v_add_f64 v[32:33], v[89:90], v[32:33]
	v_fma_f64 v[89:90], v[50:51], s[4:5], v[91:92]
	v_fma_f64 v[93:94], v[50:51], s[30:31], v[91:92]
	v_add_f64 v[34:35], v[89:90], v[34:35]
	v_mul_f64 v[89:90], v[76:77], vcc
	v_add_f64 v[30:31], v[93:94], v[30:31]
	v_fma_f64 v[91:92], v[44:45], s[6:7], v[89:90]
	v_fma_f64 v[89:90], v[44:45], s[6:7], -v[89:90]
	v_add_f64 v[36:37], v[91:92], v[36:37]
	v_mul_f64 v[91:92], v[74:75], s[6:7]
	v_add_f64 v[89:90], v[89:90], v[72:73]
	v_fma_f64 v[72:73], v[50:51], vcc, v[91:92]
	v_fma_f64 v[93:94], v[50:51], s[24:25], v[91:92]
	v_add_f64 v[91:92], v[72:73], v[70:71]
	v_mul_f64 v[72:73], v[76:77], s[12:13]
	v_add_f64 v[38:39], v[93:94], v[38:39]
	v_mul_f64 v[93:94], v[74:75], s[94:95]
	v_fma_f64 v[70:71], v[44:45], s[94:95], v[72:73]
	v_add_f64 v[68:69], v[70:71], v[68:69]
	v_fma_f64 v[70:71], v[50:51], s[72:73], v[93:94]
	v_add_f64 v[70:71], v[70:71], v[66:67]
	v_fma_f64 v[66:67], v[44:45], s[94:95], -v[72:73]
	v_add_f64 v[60:61], v[66:67], v[60:61]
	v_fma_f64 v[66:67], v[50:51], s[12:13], v[93:94]
	v_add_f64 v[62:63], v[66:67], v[62:63]
	v_mul_f64 v[66:67], v[76:77], s[74:75]
	v_fma_f64 v[72:73], v[44:45], s[10:11], v[66:67]
	v_fma_f64 v[66:67], v[44:45], s[10:11], -v[66:67]
	v_add_f64 v[52:53], v[72:73], v[52:53]
	v_mul_f64 v[72:73], v[74:75], s[10:11]
	v_add_f64 v[56:57], v[66:67], v[56:57]
	v_fma_f64 v[66:67], v[50:51], s[74:75], v[72:73]
	v_fma_f64 v[93:94], v[50:51], s[14:15], v[72:73]
	v_add_f64 v[58:59], v[66:67], v[58:59]
	v_mul_f64 v[66:67], v[76:77], s[18:19]
	v_add_f64 v[54:55], v[93:94], v[54:55]
	v_fma_f64 v[72:73], v[44:45], s[90:91], v[66:67]
	v_fma_f64 v[44:45], v[44:45], s[90:91], -v[66:67]
	v_add_f64 v[46:47], v[72:73], v[46:47]
	v_mul_f64 v[72:73], v[74:75], s[90:91]
	v_add_f64 v[42:43], v[44:45], v[42:43]
	v_fma_f64 v[74:75], v[50:51], s[26:27], v[72:73]
	v_fma_f64 v[44:45], v[50:51], s[18:19], v[72:73]
	v_readlane_b32 s4, v145, 2
	v_readlane_b32 s6, v145, 4
	;; [unrolled: 1-line block ×6, first 2 shown]
	v_add_f64 v[48:49], v[74:75], v[48:49]
	v_add_f64 v[44:45], v[44:45], v[40:41]
	ds_write_b128 v78, v[0:3]
	ds_write_b128 v78, v[4:7] offset:16
	ds_write_b128 v78, v[12:15] offset:32
	;; [unrolled: 1-line block ×16, first 2 shown]
	s_waitcnt lgkmcnt(0)
	s_barrier
	ds_read_b128 v[0:3], v78
	ds_read_b128 v[4:7], v78 offset:16
	ds_read_b128 v[8:11], v78 offset:32
	;; [unrolled: 1-line block ×3, first 2 shown]
	v_readlane_b32 s10, v145, 8
	s_waitcnt lgkmcnt(3)
	v_mul_f64 v[16:17], s[54:55], v[2:3]
	v_readlane_b32 s11, v145, 9
	v_readlane_b32 s12, v145, 10
	;; [unrolled: 1-line block ×7, first 2 shown]
	v_fma_f64 v[16:17], s[52:53], v[0:1], v[16:17]
	v_mul_f64 v[0:1], s[54:55], v[0:1]
	v_readlane_b32 s18, v145, 16
	v_readlane_b32 s19, v145, 17
	v_mul_f64 v[16:17], v[16:17], s[0:1]
	v_fma_f64 v[0:1], s[52:53], v[2:3], -v[0:1]
	v_mov_b32_e32 v2, s3
	v_mul_f64 v[18:19], v[0:1], s[0:1]
	v_lshlrev_b64 v[0:1], 4, v[64:65]
	v_add_co_u32_e32 v0, vcc, s2, v0
	v_addc_co_u32_e32 v1, vcc, v2, v1, vcc
	s_waitcnt lgkmcnt(2)
	v_mul_f64 v[2:3], s[58:59], v[6:7]
	s_lshl_b64 s[2:3], s[88:89], 4
	global_store_dwordx4 v[0:1], v[16:19], off
	v_fma_f64 v[2:3], s[56:57], v[4:5], v[2:3]
	v_mul_f64 v[4:5], s[58:59], v[4:5]
	v_mul_f64 v[2:3], v[2:3], s[0:1]
	v_fma_f64 v[4:5], s[56:57], v[6:7], -v[4:5]
	v_add_co_u32_e32 v6, vcc, s2, v0
	v_mov_b32_e32 v7, s3
	v_addc_co_u32_e32 v7, vcc, v1, v7, vcc
	s_lshl_b64 s[2:3], s[88:89], 5
	v_mul_f64 v[4:5], v[4:5], s[0:1]
	global_store_dwordx4 v[6:7], v[2:5], off
	s_waitcnt lgkmcnt(1)
	v_mul_f64 v[2:3], s[62:63], v[10:11]
	v_mul_f64 v[4:5], s[62:63], v[8:9]
	v_add_co_u32_e32 v6, vcc, s2, v0
	v_mov_b32_e32 v7, s3
	v_addc_co_u32_e32 v7, vcc, v1, v7, vcc
	v_fma_f64 v[2:3], s[60:61], v[8:9], v[2:3]
	v_fma_f64 v[4:5], s[60:61], v[10:11], -v[4:5]
	v_mul_f64 v[2:3], v[2:3], s[0:1]
	v_mul_f64 v[4:5], v[4:5], s[0:1]
	global_store_dwordx4 v[6:7], v[2:5], off
	s_waitcnt lgkmcnt(0)
	v_mul_f64 v[2:3], s[66:67], v[14:15]
	v_mul_f64 v[4:5], s[66:67], v[12:13]
	v_mad_u64_u32 v[6:7], s[2:3], s88, 48, v[0:1]
	v_mad_u64_u32 v[7:8], s[2:3], s89, 48, v[7:8]
	v_fma_f64 v[2:3], s[64:65], v[12:13], v[2:3]
	v_fma_f64 v[4:5], s[64:65], v[14:15], -v[4:5]
	s_lshl_b64 s[2:3], s[88:89], 6
	v_mul_f64 v[2:3], v[2:3], s[0:1]
	v_mul_f64 v[4:5], v[4:5], s[0:1]
	global_store_dwordx4 v[6:7], v[2:5], off
	ds_read_b128 v[2:5], v78 offset:64
	s_waitcnt lgkmcnt(0)
	v_mul_f64 v[6:7], s[6:7], v[4:5]
	v_fma_f64 v[6:7], s[4:5], v[2:3], v[6:7]
	v_mul_f64 v[2:3], s[6:7], v[2:3]
	v_mul_f64 v[6:7], v[6:7], s[0:1]
	v_fma_f64 v[2:3], s[4:5], v[4:5], -v[2:3]
	s_mov_b64 s[4:5], s[8:9]
	s_mov_b64 s[6:7], s[10:11]
	;; [unrolled: 1-line block ×6, first 2 shown]
	v_mul_f64 v[8:9], v[2:3], s[0:1]
	v_add_co_u32_e32 v2, vcc, s2, v0
	v_mov_b32_e32 v3, s3
	v_addc_co_u32_e32 v3, vcc, v1, v3, vcc
	global_store_dwordx4 v[2:3], v[6:9], off
	ds_read_b128 v[2:5], v78 offset:80
	s_waitcnt lgkmcnt(0)
	v_mul_f64 v[6:7], s[6:7], v[4:5]
	v_fma_f64 v[6:7], s[4:5], v[2:3], v[6:7]
	v_mul_f64 v[2:3], s[6:7], v[2:3]
	v_mul_f64 v[6:7], v[6:7], s[0:1]
	v_fma_f64 v[2:3], s[4:5], v[4:5], -v[2:3]
	v_mul_f64 v[8:9], v[2:3], s[0:1]
	v_mad_u64_u32 v[2:3], s[2:3], s88, v86, v[0:1]
	s_mul_i32 s2, s89, 0x50
	v_add_u32_e32 v3, s2, v3
	global_store_dwordx4 v[2:3], v[6:9], off
	ds_read_b128 v[2:5], v78 offset:96
	s_waitcnt lgkmcnt(0)
	v_mul_f64 v[6:7], s[10:11], v[4:5]
	v_fma_f64 v[6:7], s[8:9], v[2:3], v[6:7]
	v_mul_f64 v[2:3], s[10:11], v[2:3]
	v_mul_f64 v[6:7], v[6:7], s[0:1]
	v_fma_f64 v[2:3], s[8:9], v[4:5], -v[2:3]
	v_mul_f64 v[8:9], v[2:3], s[0:1]
	v_mad_u64_u32 v[2:3], s[2:3], s88, v87, v[0:1]
	s_mul_i32 s2, s89, 0x60
	v_add_u32_e32 v3, s2, v3
	global_store_dwordx4 v[2:3], v[6:9], off
	ds_read_b128 v[2:5], v78 offset:112
	s_waitcnt lgkmcnt(0)
	v_mul_f64 v[6:7], s[14:15], v[4:5]
	v_fma_f64 v[6:7], s[12:13], v[2:3], v[6:7]
	v_mul_f64 v[2:3], s[14:15], v[2:3]
	v_mul_f64 v[6:7], v[6:7], s[0:1]
	v_fma_f64 v[2:3], s[12:13], v[4:5], -v[2:3]
	v_readlane_b32 s4, v145, 18
	v_readlane_b32 s6, v145, 20
	;; [unrolled: 1-line block ×7, first 2 shown]
	v_mul_f64 v[8:9], v[2:3], s[0:1]
	v_mad_u64_u32 v[2:3], s[2:3], s88, v82, v[0:1]
	s_mul_i32 s2, s89, 0x70
	v_readlane_b32 s11, v145, 25
	v_add_u32_e32 v3, s2, v3
	s_lshl_b64 s[2:3], s[88:89], 7
	v_readlane_b32 s12, v145, 26
	global_store_dwordx4 v[2:3], v[6:9], off
	ds_read_b128 v[2:5], v78 offset:128
	v_readlane_b32 s13, v145, 27
	v_readlane_b32 s14, v145, 28
	v_readlane_b32 s15, v145, 29
	v_readlane_b32 s16, v145, 30
	s_waitcnt lgkmcnt(0)
	v_mul_f64 v[6:7], s[6:7], v[4:5]
	v_readlane_b32 s17, v145, 31
	v_readlane_b32 s18, v145, 32
	;; [unrolled: 1-line block ×3, first 2 shown]
	v_fma_f64 v[6:7], s[4:5], v[2:3], v[6:7]
	v_mul_f64 v[2:3], s[6:7], v[2:3]
	v_mul_f64 v[6:7], v[6:7], s[0:1]
	v_fma_f64 v[2:3], s[4:5], v[4:5], -v[2:3]
	s_mov_b64 s[4:5], s[8:9]
	s_mov_b64 s[6:7], s[10:11]
	;; [unrolled: 1-line block ×6, first 2 shown]
	v_mul_f64 v[8:9], v[2:3], s[0:1]
	v_add_co_u32_e32 v2, vcc, s2, v0
	v_mov_b32_e32 v3, s3
	v_addc_co_u32_e32 v3, vcc, v1, v3, vcc
	global_store_dwordx4 v[2:3], v[6:9], off
	ds_read_b128 v[2:5], v78 offset:144
	s_waitcnt lgkmcnt(0)
	v_mul_f64 v[6:7], s[6:7], v[4:5]
	v_fma_f64 v[6:7], s[4:5], v[2:3], v[6:7]
	v_mul_f64 v[2:3], s[6:7], v[2:3]
	v_mul_f64 v[6:7], v[6:7], s[0:1]
	v_fma_f64 v[2:3], s[4:5], v[4:5], -v[2:3]
	v_mul_f64 v[8:9], v[2:3], s[0:1]
	v_mad_u64_u32 v[2:3], s[2:3], s88, v84, v[0:1]
	s_mul_i32 s2, s89, 0x90
	v_add_u32_e32 v3, s2, v3
	global_store_dwordx4 v[2:3], v[6:9], off
	ds_read_b128 v[2:5], v78 offset:160
	s_waitcnt lgkmcnt(0)
	v_mul_f64 v[6:7], s[10:11], v[4:5]
	v_fma_f64 v[6:7], s[8:9], v[2:3], v[6:7]
	v_mul_f64 v[2:3], s[10:11], v[2:3]
	v_mul_f64 v[6:7], v[6:7], s[0:1]
	v_fma_f64 v[2:3], s[8:9], v[4:5], -v[2:3]
	v_mul_f64 v[8:9], v[2:3], s[0:1]
	v_mad_u64_u32 v[2:3], s[2:3], s88, v83, v[0:1]
	s_mul_i32 s2, s89, 0xa0
	v_add_u32_e32 v3, s2, v3
	;; [unrolled: 12-line block ×7, first 2 shown]
	global_store_dwordx4 v[2:3], v[6:9], off
	ds_read_b128 v[2:5], v78 offset:256
	s_waitcnt lgkmcnt(0)
	v_mul_f64 v[6:7], s[70:71], v[4:5]
	v_fma_f64 v[6:7], s[68:69], v[2:3], v[6:7]
	v_mul_f64 v[2:3], s[70:71], v[2:3]
	v_mul_f64 v[6:7], v[6:7], s[0:1]
	v_fma_f64 v[2:3], s[68:69], v[4:5], -v[2:3]
	v_mul_f64 v[8:9], v[2:3], s[0:1]
	s_lshl_b64 s[0:1], s[88:89], 8
	v_add_co_u32_e32 v0, vcc, s0, v0
	v_mov_b32_e32 v2, s1
	v_addc_co_u32_e32 v1, vcc, v1, v2, vcc
	global_store_dwordx4 v[0:1], v[6:9], off
.LBB0_2:
	s_endpgm
	.section	.rodata,"a",@progbits
	.p2align	6, 0x0
	.amdhsa_kernel bluestein_single_fwd_len17_dim1_dp_op_CI_CI
		.amdhsa_group_segment_fixed_size 32640
		.amdhsa_private_segment_fixed_size 0
		.amdhsa_kernarg_size 104
		.amdhsa_user_sgpr_count 6
		.amdhsa_user_sgpr_private_segment_buffer 1
		.amdhsa_user_sgpr_dispatch_ptr 0
		.amdhsa_user_sgpr_queue_ptr 0
		.amdhsa_user_sgpr_kernarg_segment_ptr 1
		.amdhsa_user_sgpr_dispatch_id 0
		.amdhsa_user_sgpr_flat_scratch_init 0
		.amdhsa_user_sgpr_private_segment_size 0
		.amdhsa_uses_dynamic_stack 0
		.amdhsa_system_sgpr_private_segment_wavefront_offset 0
		.amdhsa_system_sgpr_workgroup_id_x 1
		.amdhsa_system_sgpr_workgroup_id_y 0
		.amdhsa_system_sgpr_workgroup_id_z 0
		.amdhsa_system_sgpr_workgroup_info 0
		.amdhsa_system_vgpr_workitem_id 0
		.amdhsa_next_free_vgpr 146
		.amdhsa_next_free_sgpr 96
		.amdhsa_reserve_vcc 1
		.amdhsa_reserve_flat_scratch 0
		.amdhsa_float_round_mode_32 0
		.amdhsa_float_round_mode_16_64 0
		.amdhsa_float_denorm_mode_32 3
		.amdhsa_float_denorm_mode_16_64 3
		.amdhsa_dx10_clamp 1
		.amdhsa_ieee_mode 1
		.amdhsa_fp16_overflow 0
		.amdhsa_exception_fp_ieee_invalid_op 0
		.amdhsa_exception_fp_denorm_src 0
		.amdhsa_exception_fp_ieee_div_zero 0
		.amdhsa_exception_fp_ieee_overflow 0
		.amdhsa_exception_fp_ieee_underflow 0
		.amdhsa_exception_fp_ieee_inexact 0
		.amdhsa_exception_int_div_zero 0
	.end_amdhsa_kernel
	.text
.Lfunc_end0:
	.size	bluestein_single_fwd_len17_dim1_dp_op_CI_CI, .Lfunc_end0-bluestein_single_fwd_len17_dim1_dp_op_CI_CI
                                        ; -- End function
	.section	.AMDGPU.csdata,"",@progbits
; Kernel info:
; codeLenInByte = 16912
; NumSgprs: 100
; NumVgprs: 146
; ScratchSize: 0
; MemoryBound: 0
; FloatMode: 240
; IeeeMode: 1
; LDSByteSize: 32640 bytes/workgroup (compile time only)
; SGPRBlocks: 12
; VGPRBlocks: 36
; NumSGPRsForWavesPerEU: 100
; NumVGPRsForWavesPerEU: 146
; Occupancy: 1
; WaveLimiterHint : 1
; COMPUTE_PGM_RSRC2:SCRATCH_EN: 0
; COMPUTE_PGM_RSRC2:USER_SGPR: 6
; COMPUTE_PGM_RSRC2:TRAP_HANDLER: 0
; COMPUTE_PGM_RSRC2:TGID_X_EN: 1
; COMPUTE_PGM_RSRC2:TGID_Y_EN: 0
; COMPUTE_PGM_RSRC2:TGID_Z_EN: 0
; COMPUTE_PGM_RSRC2:TIDIG_COMP_CNT: 0
	.type	__hip_cuid_60fd71c0abd42cf2,@object ; @__hip_cuid_60fd71c0abd42cf2
	.section	.bss,"aw",@nobits
	.globl	__hip_cuid_60fd71c0abd42cf2
__hip_cuid_60fd71c0abd42cf2:
	.byte	0                               ; 0x0
	.size	__hip_cuid_60fd71c0abd42cf2, 1

	.ident	"AMD clang version 19.0.0git (https://github.com/RadeonOpenCompute/llvm-project roc-6.4.0 25133 c7fe45cf4b819c5991fe208aaa96edf142730f1d)"
	.section	".note.GNU-stack","",@progbits
	.addrsig
	.addrsig_sym __hip_cuid_60fd71c0abd42cf2
	.amdgpu_metadata
---
amdhsa.kernels:
  - .args:
      - .actual_access:  read_only
        .address_space:  global
        .offset:         0
        .size:           8
        .value_kind:     global_buffer
      - .actual_access:  read_only
        .address_space:  global
        .offset:         8
        .size:           8
        .value_kind:     global_buffer
      - .actual_access:  read_only
        .address_space:  global
        .offset:         16
        .size:           8
        .value_kind:     global_buffer
      - .actual_access:  read_only
        .address_space:  global
        .offset:         24
        .size:           8
        .value_kind:     global_buffer
      - .actual_access:  read_only
        .address_space:  global
        .offset:         32
        .size:           8
        .value_kind:     global_buffer
      - .offset:         40
        .size:           8
        .value_kind:     by_value
      - .address_space:  global
        .offset:         48
        .size:           8
        .value_kind:     global_buffer
      - .address_space:  global
        .offset:         56
        .size:           8
        .value_kind:     global_buffer
      - .address_space:  global
        .offset:         64
        .size:           8
        .value_kind:     global_buffer
      - .address_space:  global
        .offset:         72
        .size:           8
        .value_kind:     global_buffer
      - .offset:         80
        .size:           4
        .value_kind:     by_value
      - .address_space:  global
        .offset:         88
        .size:           8
        .value_kind:     global_buffer
      - .address_space:  global
        .offset:         96
        .size:           8
        .value_kind:     global_buffer
    .group_segment_fixed_size: 32640
    .kernarg_segment_align: 8
    .kernarg_segment_size: 104
    .language:       OpenCL C
    .language_version:
      - 2
      - 0
    .max_flat_workgroup_size: 120
    .name:           bluestein_single_fwd_len17_dim1_dp_op_CI_CI
    .private_segment_fixed_size: 0
    .sgpr_count:     100
    .sgpr_spill_count: 36
    .symbol:         bluestein_single_fwd_len17_dim1_dp_op_CI_CI.kd
    .uniform_work_group_size: 1
    .uses_dynamic_stack: false
    .vgpr_count:     146
    .vgpr_spill_count: 0
    .wavefront_size: 64
amdhsa.target:   amdgcn-amd-amdhsa--gfx906
amdhsa.version:
  - 1
  - 2
...

	.end_amdgpu_metadata
